;; amdgpu-corpus repo=ROCm/rocFFT kind=compiled arch=gfx906 opt=O3
	.text
	.amdgcn_target "amdgcn-amd-amdhsa--gfx906"
	.amdhsa_code_object_version 6
	.protected	bluestein_single_fwd_len663_dim1_half_op_CI_CI ; -- Begin function bluestein_single_fwd_len663_dim1_half_op_CI_CI
	.globl	bluestein_single_fwd_len663_dim1_half_op_CI_CI
	.p2align	8
	.type	bluestein_single_fwd_len663_dim1_half_op_CI_CI,@function
bluestein_single_fwd_len663_dim1_half_op_CI_CI: ; @bluestein_single_fwd_len663_dim1_half_op_CI_CI
; %bb.0:
	s_load_dwordx4 s[0:3], s[4:5], 0x28
	v_mul_u32_u24_e32 v1, 0x506, v0
	v_add_u32_sdwa v12, s6, v1 dst_sel:DWORD dst_unused:UNUSED_PAD src0_sel:DWORD src1_sel:WORD_1
	v_mov_b32_e32 v13, 0
	s_waitcnt lgkmcnt(0)
	v_cmp_gt_u64_e32 vcc, s[0:1], v[12:13]
	s_and_saveexec_b64 s[0:1], vcc
	s_cbranch_execz .LBB0_23
; %bb.1:
	s_load_dwordx2 s[6:7], s[4:5], 0x0
	s_load_dwordx2 s[12:13], s[4:5], 0x38
	v_mov_b32_e32 v2, 51
	v_mul_lo_u16_sdwa v1, v1, v2 dst_sel:DWORD dst_unused:UNUSED_PAD src0_sel:WORD_1 src1_sel:DWORD
	v_sub_u16_e32 v42, v0, v1
	v_cmp_gt_u16_e64 s[0:1], 39, v42
	v_lshlrev_b32_e32 v41, 2, v42
	s_and_saveexec_b64 s[8:9], s[0:1]
	s_cbranch_execz .LBB0_3
; %bb.2:
	s_load_dwordx2 s[10:11], s[4:5], 0x18
	s_waitcnt lgkmcnt(0)
	s_load_dwordx4 s[16:19], s[10:11], 0x0
	s_waitcnt lgkmcnt(0)
	v_mad_u64_u32 v[0:1], s[10:11], s18, v12, 0
	v_mad_u64_u32 v[2:3], s[10:11], s16, v42, 0
	;; [unrolled: 1-line block ×4, first 2 shown]
	v_mov_b32_e32 v1, v4
	v_lshlrev_b64 v[0:1], 2, v[0:1]
	v_mov_b32_e32 v3, v5
	v_mov_b32_e32 v6, s3
	v_lshlrev_b64 v[2:3], 2, v[2:3]
	v_add_co_u32_e32 v0, vcc, s2, v0
	v_addc_co_u32_e32 v1, vcc, v6, v1, vcc
	v_add_co_u32_e32 v0, vcc, v0, v2
	s_mul_i32 s2, s17, 0x9c
	s_mul_hi_u32 s3, s16, 0x9c
	v_addc_co_u32_e32 v1, vcc, v1, v3, vcc
	s_add_i32 s2, s3, s2
	s_mul_i32 s3, s16, 0x9c
	v_mov_b32_e32 v3, s2
	v_add_co_u32_e32 v2, vcc, s3, v0
	v_addc_co_u32_e32 v3, vcc, v1, v3, vcc
	global_load_dword v4, v[0:1], off
	global_load_dword v5, v[2:3], off
	global_load_dword v6, v41, s[6:7]
	global_load_dword v7, v41, s[6:7] offset:156
	v_mov_b32_e32 v1, s2
	v_add_co_u32_e32 v0, vcc, s3, v2
	v_addc_co_u32_e32 v1, vcc, v3, v1, vcc
	global_load_dword v2, v[0:1], off
	global_load_dword v3, v41, s[6:7] offset:312
	v_mov_b32_e32 v8, s2
	v_add_co_u32_e32 v0, vcc, s3, v0
	v_addc_co_u32_e32 v1, vcc, v1, v8, vcc
	global_load_dword v8, v[0:1], off
	global_load_dword v9, v41, s[6:7] offset:468
	v_mov_b32_e32 v10, s2
	v_add_co_u32_e32 v0, vcc, s3, v0
	v_addc_co_u32_e32 v1, vcc, v1, v10, vcc
	global_load_dword v10, v[0:1], off
	global_load_dword v11, v41, s[6:7] offset:624
	global_load_dword v13, v41, s[6:7] offset:780
	;; [unrolled: 1-line block ×4, first 2 shown]
	v_mov_b32_e32 v16, s2
	v_add_co_u32_e32 v0, vcc, s3, v0
	v_addc_co_u32_e32 v1, vcc, v1, v16, vcc
	global_load_dword v16, v[0:1], off
	v_mov_b32_e32 v17, s2
	v_add_co_u32_e32 v0, vcc, s3, v0
	v_addc_co_u32_e32 v1, vcc, v1, v17, vcc
	global_load_dword v17, v[0:1], off
	;; [unrolled: 4-line block ×3, first 2 shown]
	v_mov_b32_e32 v19, s2
	v_add_co_u32_e32 v0, vcc, s3, v0
	v_addc_co_u32_e32 v1, vcc, v1, v19, vcc
	v_mov_b32_e32 v25, s2
	v_mov_b32_e32 v27, s2
	;; [unrolled: 1-line block ×3, first 2 shown]
	s_waitcnt vmcnt(15)
	v_lshrrev_b32_e32 v20, 16, v4
	s_waitcnt vmcnt(13)
	v_mul_f16_sdwa v21, v6, v4 dst_sel:DWORD dst_unused:UNUSED_PAD src0_sel:WORD_1 src1_sel:DWORD
	v_mul_f16_sdwa v22, v6, v20 dst_sel:DWORD dst_unused:UNUSED_PAD src0_sel:WORD_1 src1_sel:DWORD
	v_fma_f16 v20, v6, v20, -v21
	v_lshrrev_b32_e32 v21, 16, v5
	s_waitcnt vmcnt(12)
	v_mul_f16_sdwa v23, v7, v5 dst_sel:DWORD dst_unused:UNUSED_PAD src0_sel:WORD_1 src1_sel:DWORD
	v_fma_f16 v4, v6, v4, v22
	v_mul_f16_sdwa v6, v7, v21 dst_sel:DWORD dst_unused:UNUSED_PAD src0_sel:WORD_1 src1_sel:DWORD
	s_waitcnt vmcnt(11)
	v_lshrrev_b32_e32 v22, 16, v2
	v_fma_f16 v21, v7, v21, -v23
	s_waitcnt vmcnt(10)
	v_mul_f16_sdwa v23, v3, v2 dst_sel:DWORD dst_unused:UNUSED_PAD src0_sel:WORD_1 src1_sel:DWORD
	v_pack_b32_f16 v4, v4, v20
	v_fma_f16 v5, v7, v5, v6
	v_mul_f16_sdwa v6, v3, v22 dst_sel:DWORD dst_unused:UNUSED_PAD src0_sel:WORD_1 src1_sel:DWORD
	s_waitcnt vmcnt(9)
	v_lshrrev_b32_e32 v20, 16, v8
	v_fma_f16 v7, v3, v22, -v23
	s_waitcnt vmcnt(8)
	v_mul_f16_sdwa v22, v9, v8 dst_sel:DWORD dst_unused:UNUSED_PAD src0_sel:WORD_1 src1_sel:DWORD
	v_fma_f16 v2, v3, v2, v6
	v_mul_f16_sdwa v3, v9, v20 dst_sel:DWORD dst_unused:UNUSED_PAD src0_sel:WORD_1 src1_sel:DWORD
	v_fma_f16 v6, v9, v20, -v22
	v_fma_f16 v3, v9, v8, v3
	v_pack_b32_f16 v5, v5, v21
	v_pack_b32_f16 v2, v2, v7
	;; [unrolled: 1-line block ×3, first 2 shown]
	ds_write2_b32 v41, v4, v5 offset1:39
	ds_write2_b32 v41, v2, v3 offset0:78 offset1:117
	global_load_dword v2, v[0:1], off
	global_load_dword v3, v41, s[6:7] offset:1248
	v_mov_b32_e32 v5, s2
	v_add_co_u32_e32 v0, vcc, s3, v0
	v_addc_co_u32_e32 v1, vcc, v1, v5, vcc
	global_load_dword v5, v[0:1], off
	global_load_dword v6, v41, s[6:7] offset:1404
	v_mov_b32_e32 v7, s2
	v_add_co_u32_e32 v0, vcc, s3, v0
	v_addc_co_u32_e32 v1, vcc, v1, v7, vcc
	;; [unrolled: 5-line block ×5, first 2 shown]
	global_load_dword v23, v[0:1], off
	global_load_dword v24, v41, s[6:7] offset:2028
	v_add_co_u32_e32 v0, vcc, s3, v0
	v_addc_co_u32_e32 v1, vcc, v1, v25, vcc
	global_load_dword v25, v[0:1], off
	global_load_dword v26, v41, s[6:7] offset:2184
	v_add_co_u32_e32 v0, vcc, s3, v0
	v_addc_co_u32_e32 v1, vcc, v1, v27, vcc
	;; [unrolled: 4-line block ×3, first 2 shown]
	global_load_dword v29, v[0:1], off
	global_load_dword v30, v41, s[6:7] offset:2496
	s_waitcnt vmcnt(25)
	v_lshrrev_b32_e32 v20, 16, v10
	s_waitcnt vmcnt(24)
	v_mul_f16_sdwa v4, v11, v20 dst_sel:DWORD dst_unused:UNUSED_PAD src0_sel:WORD_1 src1_sel:DWORD
	v_mul_f16_sdwa v0, v11, v10 dst_sel:DWORD dst_unused:UNUSED_PAD src0_sel:WORD_1 src1_sel:DWORD
	v_fma_f16 v4, v11, v10, v4
	v_fma_f16 v0, v11, v20, -v0
	s_waitcnt vmcnt(20)
	v_lshrrev_b32_e32 v1, 16, v16
	v_pack_b32_f16 v0, v4, v0
	v_mul_f16_sdwa v4, v13, v1 dst_sel:DWORD dst_unused:UNUSED_PAD src0_sel:WORD_1 src1_sel:DWORD
	v_mul_f16_sdwa v10, v13, v16 dst_sel:DWORD dst_unused:UNUSED_PAD src0_sel:WORD_1 src1_sel:DWORD
	v_fma_f16 v4, v13, v16, v4
	v_fma_f16 v1, v13, v1, -v10
	v_pack_b32_f16 v1, v4, v1
	ds_write2_b32 v41, v0, v1 offset0:156 offset1:195
	s_waitcnt vmcnt(19)
	v_lshrrev_b32_e32 v0, 16, v17
	v_mul_f16_sdwa v1, v14, v0 dst_sel:DWORD dst_unused:UNUSED_PAD src0_sel:WORD_1 src1_sel:DWORD
	v_mul_f16_sdwa v4, v14, v17 dst_sel:DWORD dst_unused:UNUSED_PAD src0_sel:WORD_1 src1_sel:DWORD
	v_fma_f16 v1, v14, v17, v1
	v_fma_f16 v0, v14, v0, -v4
	v_pack_b32_f16 v0, v1, v0
	s_waitcnt vmcnt(18)
	v_lshrrev_b32_e32 v1, 16, v18
	v_mul_f16_sdwa v4, v15, v1 dst_sel:DWORD dst_unused:UNUSED_PAD src0_sel:WORD_1 src1_sel:DWORD
	v_mul_f16_sdwa v10, v15, v18 dst_sel:DWORD dst_unused:UNUSED_PAD src0_sel:WORD_1 src1_sel:DWORD
	v_fma_f16 v4, v15, v18, v4
	v_fma_f16 v1, v15, v1, -v10
	v_pack_b32_f16 v1, v4, v1
	v_add_u32_e32 v4, 0x200, v41
	ds_write2_b32 v4, v0, v1 offset0:106 offset1:145
	s_waitcnt vmcnt(17)
	v_lshrrev_b32_e32 v0, 16, v2
	s_waitcnt vmcnt(16)
	v_mul_f16_sdwa v1, v3, v0 dst_sel:DWORD dst_unused:UNUSED_PAD src0_sel:WORD_1 src1_sel:DWORD
	v_fma_f16 v1, v3, v2, v1
	v_mul_f16_sdwa v2, v3, v2 dst_sel:DWORD dst_unused:UNUSED_PAD src0_sel:WORD_1 src1_sel:DWORD
	v_fma_f16 v0, v3, v0, -v2
	v_pack_b32_f16 v0, v1, v0
	s_waitcnt vmcnt(15)
	v_lshrrev_b32_e32 v1, 16, v5
	s_waitcnt vmcnt(14)
	v_mul_f16_sdwa v2, v6, v1 dst_sel:DWORD dst_unused:UNUSED_PAD src0_sel:WORD_1 src1_sel:DWORD
	v_mul_f16_sdwa v3, v6, v5 dst_sel:DWORD dst_unused:UNUSED_PAD src0_sel:WORD_1 src1_sel:DWORD
	v_fma_f16 v2, v6, v5, v2
	v_fma_f16 v1, v6, v1, -v3
	v_pack_b32_f16 v1, v2, v1
	v_add_u32_e32 v2, 0x400, v41
	ds_write2_b32 v2, v0, v1 offset0:56 offset1:95
	s_waitcnt vmcnt(13)
	v_lshrrev_b32_e32 v0, 16, v7
	s_waitcnt vmcnt(12)
	v_mul_f16_sdwa v1, v8, v0 dst_sel:DWORD dst_unused:UNUSED_PAD src0_sel:WORD_1 src1_sel:DWORD
	v_mul_f16_sdwa v3, v8, v7 dst_sel:DWORD dst_unused:UNUSED_PAD src0_sel:WORD_1 src1_sel:DWORD
	v_fma_f16 v1, v8, v7, v1
	v_fma_f16 v0, v8, v0, -v3
	v_pack_b32_f16 v0, v1, v0
	s_waitcnt vmcnt(11)
	v_lshrrev_b32_e32 v1, 16, v9
	s_waitcnt vmcnt(10)
	v_mul_f16_sdwa v3, v19, v1 dst_sel:DWORD dst_unused:UNUSED_PAD src0_sel:WORD_1 src1_sel:DWORD
	v_mul_f16_sdwa v4, v19, v9 dst_sel:DWORD dst_unused:UNUSED_PAD src0_sel:WORD_1 src1_sel:DWORD
	v_fma_f16 v3, v19, v9, v3
	v_fma_f16 v1, v19, v1, -v4
	v_pack_b32_f16 v1, v3, v1
	ds_write2_b32 v2, v0, v1 offset0:134 offset1:173
	s_waitcnt vmcnt(9)
	v_lshrrev_b32_e32 v0, 16, v21
	s_waitcnt vmcnt(8)
	v_mul_f16_sdwa v1, v22, v0 dst_sel:DWORD dst_unused:UNUSED_PAD src0_sel:WORD_1 src1_sel:DWORD
	v_mul_f16_sdwa v3, v22, v21 dst_sel:DWORD dst_unused:UNUSED_PAD src0_sel:WORD_1 src1_sel:DWORD
	v_fma_f16 v1, v22, v21, v1
	v_fma_f16 v0, v22, v0, -v3
	v_pack_b32_f16 v0, v1, v0
	s_waitcnt vmcnt(7)
	v_lshrrev_b32_e32 v1, 16, v23
	s_waitcnt vmcnt(6)
	v_mul_f16_sdwa v3, v24, v1 dst_sel:DWORD dst_unused:UNUSED_PAD src0_sel:WORD_1 src1_sel:DWORD
	v_mul_f16_sdwa v4, v24, v23 dst_sel:DWORD dst_unused:UNUSED_PAD src0_sel:WORD_1 src1_sel:DWORD
	v_fma_f16 v3, v24, v23, v3
	v_fma_f16 v1, v24, v1, -v4
	v_pack_b32_f16 v1, v3, v1
	;; [unrolled: 17-line block ×3, first 2 shown]
	v_add_u32_e32 v2, 0x800, v41
	ds_write2_b32 v2, v0, v1 offset0:34 offset1:73
	s_waitcnt vmcnt(1)
	v_lshrrev_b32_e32 v0, 16, v29
	s_waitcnt vmcnt(0)
	v_mul_f16_sdwa v1, v30, v0 dst_sel:DWORD dst_unused:UNUSED_PAD src0_sel:WORD_1 src1_sel:DWORD
	v_mul_f16_sdwa v2, v30, v29 dst_sel:DWORD dst_unused:UNUSED_PAD src0_sel:WORD_1 src1_sel:DWORD
	v_fma_f16 v1, v30, v29, v1
	v_fma_f16 v0, v30, v0, -v2
	v_pack_b32_f16 v0, v1, v0
	ds_write_b32 v41, v0 offset:2496
.LBB0_3:
	s_or_b64 exec, exec, s[8:9]
	s_load_dwordx2 s[2:3], s[4:5], 0x20
	s_load_dwordx2 s[14:15], s[4:5], 0x8
	v_mov_b32_e32 v0, 0
	s_waitcnt lgkmcnt(0)
	; wave barrier
	s_waitcnt lgkmcnt(0)
                                        ; implicit-def: $vgpr19
                                        ; implicit-def: $vgpr5
                                        ; implicit-def: $vgpr3
                                        ; implicit-def: $vgpr7
                                        ; implicit-def: $vgpr11
                                        ; implicit-def: $vgpr9
                                        ; implicit-def: $vgpr16
                                        ; implicit-def: $vgpr18
                                        ; implicit-def: $vgpr85
	s_and_saveexec_b64 s[4:5], s[0:1]
	s_cbranch_execz .LBB0_5
; %bb.4:
	v_add_u32_e32 v2, 0x200, v41
	ds_read2_b32 v[0:1], v41 offset1:39
	ds_read2_b32 v[17:18], v41 offset0:78 offset1:117
	ds_read2_b32 v[15:16], v41 offset0:156 offset1:195
	;; [unrolled: 1-line block ×3, first 2 shown]
	v_add_u32_e32 v2, 0x400, v41
	ds_read2_b32 v[10:11], v2 offset0:56 offset1:95
	ds_read2_b32 v[6:7], v2 offset0:134 offset1:173
	;; [unrolled: 1-line block ×3, first 2 shown]
	v_add_u32_e32 v4, 0x800, v41
	ds_read2_b32 v[4:5], v4 offset0:34 offset1:73
	ds_read_b32 v19, v41 offset:2496
	s_waitcnt lgkmcnt(0)
	v_alignbit_b32 v85, v17, v17, 16
.LBB0_5:
	s_or_b64 exec, exec, s[4:5]
	v_pk_add_f16 v17, v1, v19 neg_lo:[0,1] neg_hi:[0,1]
	s_mov_b32 s28, 0xbb29
	v_pk_add_f16 v20, v19, v1
	s_movk_i32 s10, 0x3722
	v_mul_f16_sdwa v54, v17, s28 dst_sel:DWORD dst_unused:UNUSED_PAD src0_sel:WORD_1 src1_sel:DWORD
	s_mov_b32 s27, 0xb5c8
	v_fma_f16 v21, v20, s10, v54
	s_movk_i32 s8, 0x3b76
	v_mul_f16_sdwa v34, v17, s27 dst_sel:DWORD dst_unused:UNUSED_PAD src0_sel:WORD_1 src1_sel:DWORD
	s_mov_b32 s29, 0xb964
	v_add_f16_e32 v23, v21, v0
	v_pk_add_f16 v21, v5, v85 op_sel:[1,0] op_sel_hi:[0,1]
	v_pk_add_f16 v22, v85, v5 op_sel:[1,0] op_sel_hi:[0,1] neg_lo:[0,1] neg_hi:[0,1]
	v_fma_f16 v13, v20, s8, v34
	v_lshrrev_b32_e32 v25, 16, v20
	s_movk_i32 s9, 0x39e9
	v_mul_f16_e32 v49, 0xb964, v17
	v_lshrrev_b32_e32 v28, 16, v21
	v_mul_f16_sdwa v39, v22, s29 dst_sel:DWORD dst_unused:UNUSED_PAD src0_sel:WORD_1 src1_sel:DWORD
	v_add_f16_e32 v13, v13, v0
	v_fma_f16 v14, v25, s9, -v49
	s_movk_i32 s11, 0x2de8
	v_fma_f16 v24, v28, s9, v39
	v_mul_f16_e32 v53, 0xbbf7, v22
	s_mov_b32 s16, 0xba62
	v_add_f16_sdwa v14, v14, v0 dst_sel:DWORD dst_unused:UNUSED_PAD src0_sel:DWORD src1_sel:WORD_1
	v_add_f16_e32 v13, v24, v13
	v_fma_f16 v24, v21, s11, -v53
	s_mov_b32 s17, 0xb8d2
	v_mul_f16_sdwa v58, v22, s16 dst_sel:DWORD dst_unused:UNUSED_PAD src0_sel:WORD_1 src1_sel:DWORD
	v_mul_f16_e32 v57, 0xbb29, v17
	v_add_f16_e32 v14, v24, v14
	v_fma_f16 v24, v28, s17, v58
	v_add_f16_e32 v26, v24, v23
	v_fma_f16 v23, v25, s10, -v57
	v_mul_f16_e32 v62, 0xba62, v22
	s_mov_b32 s31, 0xbbf7
	v_add_f16_sdwa v23, v23, v0 dst_sel:DWORD dst_unused:UNUSED_PAD src0_sel:DWORD src1_sel:WORD_1
	v_fma_f16 v24, v21, s17, -v62
	v_mul_f16_sdwa v67, v17, s31 dst_sel:DWORD dst_unused:UNUSED_PAD src0_sel:WORD_1 src1_sel:DWORD
	s_mov_b32 s18, 0xb1e1
	v_add_f16_e32 v27, v24, v23
	v_fma_f16 v23, v20, s11, v67
	s_mov_b32 s19, 0xbbdd
	v_mul_f16_sdwa v68, v22, s18 dst_sel:DWORD dst_unused:UNUSED_PAD src0_sel:WORD_1 src1_sel:DWORD
	v_add_f16_e32 v23, v23, v0
	v_fma_f16 v24, v28, s19, v68
	v_mul_f16_e32 v74, 0xbbf7, v17
	v_add_f16_e32 v29, v24, v23
	v_fma_f16 v23, v25, s11, -v74
	v_mul_f16_e32 v77, 0xb1e1, v22
	v_add_f16_sdwa v23, v23, v0 dst_sel:DWORD dst_unused:UNUSED_PAD src0_sel:DWORD src1_sel:WORD_1
	v_fma_f16 v24, v21, s19, -v77
	v_add_f16_e32 v30, v24, v23
	v_pk_add_f16 v23, v18, v4 neg_lo:[0,1] neg_hi:[0,1]
	v_pk_add_f16 v24, v4, v18
	v_mul_f16_sdwa v52, v23, s28 dst_sel:DWORD dst_unused:UNUSED_PAD src0_sel:WORD_1 src1_sel:DWORD
	v_fma_f16 v31, v24, s10, v52
	v_lshrrev_b32_e32 v33, 16, v24
	v_mul_f16_e32 v60, 0xba62, v23
	s_movk_i32 s4, 0x31e1
	v_add_f16_e32 v13, v31, v13
	v_fma_f16 v31, v33, s17, -v60
	v_mul_f16_sdwa v64, v23, s4 dst_sel:DWORD dst_unused:UNUSED_PAD src0_sel:WORD_1 src1_sel:DWORD
	v_add_f16_e32 v14, v31, v14
	v_fma_f16 v31, v24, s19, v64
	v_mul_f16_e32 v70, 0x31e1, v23
	s_movk_i32 s30, 0x3bb2
	v_add_f16_e32 v26, v31, v26
	v_fma_f16 v31, v33, s19, -v70
	s_mov_b32 s20, 0xb461
	v_mul_f16_sdwa v75, v23, s30 dst_sel:DWORD dst_unused:UNUSED_PAD src0_sel:WORD_1 src1_sel:DWORD
	v_add_f16_e32 v31, v31, v27
	v_fma_f16 v27, v24, s20, v75
	v_mul_f16_e32 v82, 0x3bb2, v23
	v_add_f16_e32 v32, v27, v29
	v_fma_f16 v27, v33, s20, -v82
	v_add_f16_e32 v30, v27, v30
	v_pk_add_f16 v27, v15, v3 neg_lo:[0,1] neg_hi:[0,1]
	v_pk_add_f16 v29, v3, v15
	v_mul_f16_sdwa v56, v27, s31 dst_sel:DWORD dst_unused:UNUSED_PAD src0_sel:WORD_1 src1_sel:DWORD
	v_fma_f16 v35, v29, s11, v56
	v_lshrrev_b32_e32 v37, 16, v29
	v_mul_f16_e32 v63, 0xb1e1, v27
	v_add_f16_e32 v13, v35, v13
	v_fma_f16 v35, v37, s19, -v63
	v_mul_f16_sdwa v69, v27, s30 dst_sel:DWORD dst_unused:UNUSED_PAD src0_sel:WORD_1 src1_sel:DWORD
	v_add_f16_e32 v14, v35, v14
	v_fma_f16 v35, v29, s20, v69
	v_mul_f16_e32 v73, 0x3bb2, v27
	s_movk_i32 s22, 0x35c8
	v_add_f16_e32 v26, v35, v26
	v_fma_f16 v35, v37, s20, -v73
	v_mul_f16_sdwa v80, v27, s22 dst_sel:DWORD dst_unused:UNUSED_PAD src0_sel:WORD_1 src1_sel:DWORD
	v_add_f16_e32 v35, v35, v31
	v_fma_f16 v31, v29, s8, v80
	v_mul_f16_e32 v86, 0x35c8, v27
	v_add_f16_e32 v32, v31, v32
	v_fma_f16 v31, v37, s8, -v86
	v_add_f16_e32 v36, v31, v30
	s_mov_b32 s21, 0xbbb2
	v_pk_add_f16 v30, v16, v2 neg_lo:[0,1] neg_hi:[0,1]
	v_pk_add_f16 v31, v2, v16
	v_mul_f16_sdwa v61, v30, s21 dst_sel:DWORD dst_unused:UNUSED_PAD src0_sel:WORD_1 src1_sel:DWORD
	v_fma_f16 v38, v31, s20, v61
	s_mov_b32 s24, 0xbacd
	v_lshrrev_b32_e32 v50, 16, v31
	v_mul_f16_e32 v71, 0x3836, v30
	s_movk_i32 s23, 0x3964
	v_add_f16_e32 v13, v38, v13
	v_fma_f16 v38, v50, s24, -v71
	v_mul_f16_sdwa v78, v30, s23 dst_sel:DWORD dst_unused:UNUSED_PAD src0_sel:WORD_1 src1_sel:DWORD
	v_add_f16_e32 v14, v38, v14
	v_fma_f16 v38, v31, s9, v78
	v_mul_f16_e32 v84, 0x3964, v30
	v_add_f16_e32 v26, v38, v26
	v_fma_f16 v38, v50, s9, -v84
	v_mul_f16_sdwa v89, v30, s28 dst_sel:DWORD dst_unused:UNUSED_PAD src0_sel:WORD_1 src1_sel:DWORD
	v_add_f16_e32 v38, v38, v35
	v_fma_f16 v35, v31, s10, v89
	v_mul_f16_e32 v94, 0xbb29, v30
	v_add_f16_e32 v40, v35, v32
	v_fma_f16 v32, v50, s10, -v94
	v_add_f16_e32 v36, v32, v36
	v_pk_add_f16 v32, v8, v7 neg_lo:[0,1] neg_hi:[0,1]
	v_pk_add_f16 v35, v7, v8
	v_mul_f16_sdwa v66, v32, s16 dst_sel:DWORD dst_unused:UNUSED_PAD src0_sel:WORD_1 src1_sel:DWORD
	v_fma_f16 v43, v35, s17, v66
	v_lshrrev_b32_e32 v55, 16, v35
	v_mul_f16_e32 v76, 0x3bb2, v32
	v_add_f16_e32 v13, v43, v13
	v_fma_f16 v43, v55, s20, -v76
	v_mul_f16_sdwa v83, v32, s27 dst_sel:DWORD dst_unused:UNUSED_PAD src0_sel:WORD_1 src1_sel:DWORD
	v_add_f16_e32 v14, v43, v14
	v_fma_f16 v43, v35, s8, v83
	v_mul_f16_e32 v88, 0xb5c8, v32
	s_mov_b32 s25, 0xb836
	v_add_f16_e32 v26, v43, v26
	v_fma_f16 v43, v55, s8, -v88
	v_mul_f16_sdwa v92, v32, s25 dst_sel:DWORD dst_unused:UNUSED_PAD src0_sel:WORD_1 src1_sel:DWORD
	v_add_f16_e32 v43, v43, v38
	v_fma_f16 v38, v35, s24, v92
	v_mul_f16_e32 v108, 0xb836, v32
	v_add_f16_e32 v40, v38, v40
	v_fma_f16 v38, v55, s24, -v108
	v_add_f16_e32 v44, v38, v36
	v_pk_add_f16 v36, v9, v6 neg_lo:[0,1] neg_hi:[0,1]
	v_pk_add_f16 v38, v6, v9
	v_mul_f16_sdwa v72, v36, s25 dst_sel:DWORD dst_unused:UNUSED_PAD src0_sel:WORD_1 src1_sel:DWORD
	v_fma_f16 v45, v38, s24, v72
	v_lshrrev_b32_e32 v59, 16, v38
	v_mul_f16_e32 v81, 0x3b29, v36
	v_add_f16_e32 v13, v45, v13
	v_fma_f16 v45, v59, s10, -v81
	v_mul_f16_sdwa v87, v36, s31 dst_sel:DWORD dst_unused:UNUSED_PAD src0_sel:WORD_1 src1_sel:DWORD
	v_add_f16_e32 v14, v45, v14
	v_fma_f16 v45, v38, s11, v87
	v_mul_f16_e32 v91, 0xbbf7, v36
	s_movk_i32 s34, 0x3a62
	v_add_f16_e32 v26, v45, v26
	v_fma_f16 v45, v59, s11, -v91
	v_mul_f16_sdwa v107, v36, s34 dst_sel:DWORD dst_unused:UNUSED_PAD src0_sel:WORD_1 src1_sel:DWORD
	v_add_f16_e32 v43, v45, v43
	v_fma_f16 v45, v38, s17, v107
	v_mul_f16_e32 v114, 0x3a62, v36
	v_pk_add_f16 v47, v10, v11 neg_lo:[0,1] neg_hi:[0,1]
	v_add_f16_e32 v117, v45, v40
	v_fma_f16 v40, v59, s17, -v114
	v_pk_add_f16 v51, v11, v10
	v_mul_f16_sdwa v79, v47, s18 dst_sel:DWORD dst_unused:UNUSED_PAD src0_sel:WORD_1 src1_sel:DWORD
	v_add_f16_e32 v46, v40, v44
	v_fma_f16 v40, v51, s19, v79
	v_lshrrev_b32_e32 v65, 16, v51
	v_mul_f16_e32 v90, 0x35c8, v47
	v_add_f16_e32 v44, v40, v13
	v_fma_f16 v13, v65, s8, -v90
	v_mul_f16_e32 v113, 0xb836, v47
	v_add_f16_e32 v45, v13, v14
	v_fma_f16 v14, v65, s24, -v113
	;; [unrolled: 3-line block ×3, first 2 shown]
	s_mov_b32 s4, 0x3b7639e9
	v_add_f16_e32 v48, v14, v46
	s_mov_b32 s5, 0xb964b5c8
	v_pk_mul_f16 v14, v20, s4
	v_pk_fma_f16 v93, v17, s5, v14 op_sel:[0,0,1] op_sel_hi:[1,1,0] neg_lo:[1,0,0] neg_hi:[1,0,0]
	v_pk_fma_f16 v95, v17, s5, v14 op_sel:[0,0,1] op_sel_hi:[1,1,0]
	s_mov_b32 s5, 0xbbf7b964
	s_mov_b32 s4, 0x2de839e9
	v_pk_mul_f16 v14, v22, s5
	v_pk_fma_f16 v96, v21, s4, v14 neg_lo:[0,0,1] neg_hi:[0,0,1]
	v_pk_fma_f16 v97, v21, s4, v14
	s_mov_b32 s4, 0x3722b8d2
	s_mov_b32 s5, 0xba62bb29
	v_pk_mul_f16 v14, v24, s4
	s_mov_b32 s4, 0x2de8bbdd
	v_pk_fma_f16 v98, v23, s5, v14 op_sel:[0,0,1] op_sel_hi:[1,1,0] neg_lo:[1,0,0] neg_hi:[1,0,0]
	v_pk_fma_f16 v99, v23, s5, v14 op_sel:[0,0,1] op_sel_hi:[1,1,0]
	s_mov_b32 s5, 0xb1e1bbf7
	v_pk_mul_f16 v14, v29, s4
	s_mov_b32 s4, 0xb461bacd
	v_pk_fma_f16 v101, v27, s5, v14 op_sel:[0,0,1] op_sel_hi:[1,1,0] neg_lo:[1,0,0] neg_hi:[1,0,0]
	v_pk_fma_f16 v102, v27, s5, v14 op_sel:[0,0,1] op_sel_hi:[1,1,0]
	;; [unrolled: 5-line block ×4, first 2 shown]
	s_mov_b32 s5, 0x3b29b836
	v_pk_mul_f16 v14, v38, s4
	v_pk_fma_f16 v109, v36, s5, v14 op_sel:[0,0,1] op_sel_hi:[1,1,0] neg_lo:[1,0,0] neg_hi:[1,0,0]
	v_pk_fma_f16 v110, v36, s5, v14 op_sel:[0,0,1] op_sel_hi:[1,1,0]
	v_add_f16_sdwa v14, v93, v0 dst_sel:DWORD dst_unused:UNUSED_PAD src0_sel:DWORD src1_sel:WORD_1
	v_add_f16_e32 v14, v96, v14
	v_add_f16_e32 v14, v98, v14
	v_mul_f16_sdwa v100, v47, s25 dst_sel:DWORD dst_unused:UNUSED_PAD src0_sel:WORD_1 src1_sel:DWORD
	v_add_f16_e32 v14, v101, v14
	v_fma_f16 v13, v51, s24, v100
	s_mov_b32 s4, 0xbbdd3b76
	v_add_f16_e32 v14, v103, v14
	v_add_f16_e32 v13, v13, v26
	s_mov_b32 s5, 0x35c8b1e1
	v_add_f16_e32 v14, v105, v14
	v_pk_mul_f16 v26, v51, s4
	v_add_f16_e32 v14, v109, v14
	v_pk_fma_f16 v111, v47, s5, v26 op_sel:[0,0,1] op_sel_hi:[1,1,0] neg_lo:[1,0,0] neg_hi:[1,0,0]
	v_add_f16_e32 v46, v111, v14
	v_add_f16_sdwa v14, v95, v0 dst_sel:DWORD dst_unused:UNUSED_PAD src0_sel:WORD_1 src1_sel:DWORD
	v_add_f16_sdwa v14, v97, v14 dst_sel:DWORD dst_unused:UNUSED_PAD src0_sel:WORD_1 src1_sel:DWORD
	;; [unrolled: 1-line block ×6, first 2 shown]
	v_mul_f16_sdwa v116, v47, s23 dst_sel:DWORD dst_unused:UNUSED_PAD src0_sel:WORD_1 src1_sel:DWORD
	v_pk_fma_f16 v112, v47, s5, v26 op_sel:[0,0,1] op_sel_hi:[1,1,0]
	v_add_f16_sdwa v14, v110, v14 dst_sel:DWORD dst_unused:UNUSED_PAD src0_sel:WORD_1 src1_sel:DWORD
	v_fma_f16 v26, v51, s9, v116
	s_movk_i32 s33, 0x3836
	s_movk_i32 s26, 0x3b29
	v_add_f16_e32 v26, v26, v117
	v_add_f16_sdwa v14, v112, v14 dst_sel:DWORD dst_unused:UNUSED_PAD src0_sel:WORD_1 src1_sel:DWORD
	v_mul_lo_u16_e32 v43, 17, v42
	s_waitcnt lgkmcnt(0)
	; wave barrier
	s_waitcnt lgkmcnt(0)
	s_and_saveexec_b64 s[4:5], s[0:1]
	s_cbranch_execz .LBB0_7
; %bb.6:
	v_alignbit_b32 v117, v0, v0, 16
	v_alignbit_b32 v85, v85, v85, 16
	v_pk_add_f16 v1, v1, v117 op_sel:[0,1] op_sel_hi:[1,0]
	v_pk_add_f16 v1, v85, v1
	v_pk_add_f16 v1, v18, v1
	v_mul_f16_e32 v18, 0xb836, v17
	v_pk_add_f16 v1, v15, v1
	v_pk_add_f16 v1, v16, v1
	v_fma_f16 v15, v25, s24, v18
	v_mul_f16_e32 v16, 0x3b29, v22
	v_add_f16_sdwa v15, v15, v0 dst_sel:DWORD dst_unused:UNUSED_PAD src0_sel:DWORD src1_sel:WORD_1
	v_fma_f16 v85, v21, s10, v16
	v_add_f16_e32 v15, v85, v15
	v_mul_f16_e32 v85, 0xbbf7, v23
	v_fma_f16 v118, v33, s11, v85
	v_add_f16_e32 v15, v118, v15
	v_mul_f16_e32 v118, 0x3a62, v27
	;; [unrolled: 3-line block ×6, first 2 shown]
	v_fma_f16 v123, v65, s20, v122
	v_add_f16_e32 v15, v123, v15
	v_mul_f16_sdwa v123, v17, s25 dst_sel:DWORD dst_unused:UNUSED_PAD src0_sel:WORD_1 src1_sel:DWORD
	v_fma_f16 v124, v20, s24, -v123
	v_mul_f16_sdwa v125, v22, s26 dst_sel:DWORD dst_unused:UNUSED_PAD src0_sel:WORD_1 src1_sel:DWORD
	v_add_f16_e32 v124, v124, v0
	v_fma_f16 v126, v28, s10, -v125
	v_add_f16_e32 v124, v126, v124
	v_mul_f16_sdwa v126, v23, s31 dst_sel:DWORD dst_unused:UNUSED_PAD src0_sel:WORD_1 src1_sel:DWORD
	v_fma_f16 v127, v24, s11, -v126
	v_add_f16_e32 v124, v127, v124
	v_mul_f16_sdwa v127, v27, s34 dst_sel:DWORD dst_unused:UNUSED_PAD src0_sel:WORD_1 src1_sel:DWORD
	;; [unrolled: 3-line block ×6, first 2 shown]
	v_fma_f16 v132, v51, s20, -v131
	v_add_f16_e32 v124, v132, v124
	v_mul_f16_e32 v132, 0xba62, v17
	v_fma_f16 v133, v25, s17, v132
	v_mul_f16_e32 v134, 0x3bb2, v22
	v_add_f16_sdwa v133, v133, v0 dst_sel:DWORD dst_unused:UNUSED_PAD src0_sel:DWORD src1_sel:WORD_1
	v_fma_f16 v135, v21, s20, v134
	v_add_f16_e32 v133, v135, v133
	v_mul_f16_e32 v135, 0xb5c8, v23
	v_fma_f16 v136, v33, s8, v135
	v_add_f16_e32 v133, v136, v133
	v_mul_f16_e32 v136, 0xb836, v27
	v_fma_f16 v137, v37, s24, v136
	v_add_f16_e32 v133, v137, v133
	v_mul_f16_e32 v137, 0x3bf7, v30
	v_fma_f16 v138, v50, s11, v137
	v_add_f16_e32 v133, v138, v133
	v_mul_f16_e32 v138, 0xb964, v32
	v_fma_f16 v139, v55, s9, v138
	v_add_f16_e32 v133, v139, v133
	v_mul_f16_e32 v139, 0xb1e1, v36
	v_fma_f16 v140, v59, s19, v139
	v_add_f16_e32 v133, v140, v133
	v_mul_f16_e32 v140, 0x3b29, v47
	v_fma_f16 v141, v65, s10, v140
	v_add_f16_e32 v133, v141, v133
	v_mul_f16_sdwa v141, v17, s16 dst_sel:DWORD dst_unused:UNUSED_PAD src0_sel:WORD_1 src1_sel:DWORD
	v_fma_f16 v142, v20, s17, -v141
	v_mul_f16_sdwa v143, v22, s30 dst_sel:DWORD dst_unused:UNUSED_PAD src0_sel:WORD_1 src1_sel:DWORD
	v_add_f16_e32 v142, v142, v0
	v_fma_f16 v144, v28, s20, -v143
	v_add_f16_e32 v142, v144, v142
	v_mul_f16_sdwa v144, v23, s27 dst_sel:DWORD dst_unused:UNUSED_PAD src0_sel:WORD_1 src1_sel:DWORD
	v_fma_f16 v145, v24, s8, -v144
	v_add_f16_e32 v142, v145, v142
	v_mul_f16_sdwa v145, v27, s25 dst_sel:DWORD dst_unused:UNUSED_PAD src0_sel:WORD_1 src1_sel:DWORD
	v_fma_f16 v146, v29, s24, -v145
	s_movk_i32 s30, 0x3bf7
	v_add_f16_e32 v142, v146, v142
	v_mul_f16_sdwa v146, v30, s30 dst_sel:DWORD dst_unused:UNUSED_PAD src0_sel:WORD_1 src1_sel:DWORD
	v_fma_f16 v147, v31, s11, -v146
	v_add_f16_e32 v142, v147, v142
	v_mul_f16_sdwa v147, v32, s29 dst_sel:DWORD dst_unused:UNUSED_PAD src0_sel:WORD_1 src1_sel:DWORD
	v_fma_f16 v148, v35, s9, -v147
	v_add_f16_e32 v142, v148, v142
	v_mul_f16_sdwa v148, v36, s18 dst_sel:DWORD dst_unused:UNUSED_PAD src0_sel:WORD_1 src1_sel:DWORD
	v_fma_f16 v149, v38, s19, -v148
	v_add_f16_e32 v142, v149, v142
	v_mul_f16_sdwa v149, v47, s26 dst_sel:DWORD dst_unused:UNUSED_PAD src0_sel:WORD_1 src1_sel:DWORD
	v_fma_f16 v150, v51, s10, -v149
	v_add_f16_e32 v142, v150, v142
	v_mul_f16_e32 v150, 0xbbb2, v17
	v_fma_f16 v151, v25, s20, v150
	v_mul_f16_e32 v152, 0x3836, v22
	v_add_f16_sdwa v151, v151, v0 dst_sel:DWORD dst_unused:UNUSED_PAD src0_sel:DWORD src1_sel:WORD_1
	v_fma_f16 v153, v21, s24, v152
	v_add_f16_e32 v151, v153, v151
	v_mul_f16_e32 v153, 0x3964, v23
	v_fma_f16 v154, v33, s9, v153
	v_add_f16_e32 v151, v154, v151
	v_mul_f16_e32 v154, 0xbb29, v27
	;; [unrolled: 3-line block ×6, first 2 shown]
	v_fma_f16 v159, v65, s17, v158
	v_add_f16_e32 v151, v159, v151
	v_mul_f16_sdwa v159, v17, s21 dst_sel:DWORD dst_unused:UNUSED_PAD src0_sel:WORD_1 src1_sel:DWORD
	v_fma_f16 v160, v20, s20, -v159
	v_mul_f16_sdwa v161, v22, s33 dst_sel:DWORD dst_unused:UNUSED_PAD src0_sel:WORD_1 src1_sel:DWORD
	v_add_f16_e32 v160, v160, v0
	v_fma_f16 v162, v28, s24, -v161
	v_add_f16_e32 v160, v162, v160
	v_mul_f16_sdwa v162, v23, s23 dst_sel:DWORD dst_unused:UNUSED_PAD src0_sel:WORD_1 src1_sel:DWORD
	v_fma_f16 v163, v24, s9, -v162
	v_add_f16_e32 v160, v163, v160
	v_mul_f16_sdwa v163, v27, s28 dst_sel:DWORD dst_unused:UNUSED_PAD src0_sel:WORD_1 src1_sel:DWORD
	;; [unrolled: 3-line block ×6, first 2 shown]
	v_fma_f16 v168, v51, s17, -v167
	v_add_f16_e32 v160, v168, v160
	v_mul_f16_e32 v168, 0x2de8, v25
	v_add_f16_e32 v74, v74, v168
	v_mul_f16_e32 v168, 0xbbdd, v21
	v_add_f16_e32 v77, v77, v168
	v_add_f16_sdwa v74, v74, v0 dst_sel:DWORD dst_unused:UNUSED_PAD src0_sel:DWORD src1_sel:WORD_1
	v_add_f16_e32 v74, v77, v74
	v_mul_f16_e32 v77, 0xb461, v33
	v_add_f16_e32 v77, v82, v77
	v_add_f16_e32 v74, v77, v74
	v_mul_f16_e32 v77, 0x3b76, v37
	v_add_f16_e32 v77, v86, v77
	;; [unrolled: 3-line block ×6, first 2 shown]
	v_add_f16_e32 v74, v77, v74
	v_mul_f16_e32 v77, 0x2de8, v20
	v_sub_f16_e32 v67, v77, v67
	v_mul_f16_e32 v77, 0xbbdd, v28
	v_sub_f16_e32 v68, v77, v68
	v_add_f16_e32 v67, v67, v0
	v_add_f16_e32 v67, v68, v67
	v_mul_f16_e32 v68, 0xb461, v24
	v_sub_f16_e32 v68, v68, v75
	v_add_f16_e32 v67, v68, v67
	v_mul_f16_e32 v68, 0x3b76, v29
	v_sub_f16_e32 v68, v68, v80
	;; [unrolled: 3-line block ×6, first 2 shown]
	v_add_f16_e32 v67, v68, v67
	v_mul_f16_e32 v68, 0x3722, v25
	v_add_f16_e32 v57, v57, v68
	v_mul_f16_e32 v68, 0xb8d2, v21
	v_add_f16_e32 v62, v62, v68
	v_add_f16_sdwa v57, v57, v0 dst_sel:DWORD dst_unused:UNUSED_PAD src0_sel:DWORD src1_sel:WORD_1
	v_add_f16_e32 v57, v62, v57
	v_mul_f16_e32 v62, 0xbbdd, v33
	v_add_f16_e32 v62, v70, v62
	v_mul_f16_e32 v70, 0x3b76, v20
	v_sub_f16_e32 v34, v70, v34
	v_mul_f16_e32 v70, 0x39e9, v28
	v_sub_f16_e32 v39, v70, v39
	v_add_f16_e32 v34, v34, v0
	v_add_f16_e32 v34, v39, v34
	v_mul_f16_e32 v39, 0x3722, v24
	v_add_f16_e32 v57, v62, v57
	v_mul_f16_e32 v62, 0xb461, v37
	v_sub_f16_e32 v39, v39, v52
	v_add_f16_e32 v62, v73, v62
	v_add_f16_e32 v34, v39, v34
	v_mul_f16_e32 v39, 0x2de8, v29
	v_add_f16_e32 v57, v62, v57
	v_mul_f16_e32 v62, 0x39e9, v50
	v_sub_f16_e32 v39, v39, v56
	v_fma_f16 v18, v25, s24, -v18
	v_add_f16_e32 v62, v84, v62
	v_add_f16_e32 v34, v39, v34
	v_mul_f16_e32 v39, 0xb461, v31
	v_add_f16_sdwa v18, v18, v0 dst_sel:DWORD dst_unused:UNUSED_PAD src0_sel:DWORD src1_sel:WORD_1
	v_fma_f16 v16, v21, s10, -v16
	v_add_f16_e32 v57, v62, v57
	v_mul_f16_e32 v62, 0x3b76, v55
	v_sub_f16_e32 v39, v39, v61
	v_add_f16_e32 v16, v16, v18
	v_fma_f16 v18, v33, s11, -v85
	v_add_f16_e32 v62, v88, v62
	v_add_f16_e32 v34, v39, v34
	v_mul_f16_e32 v39, 0xb8d2, v35
	v_add_f16_e32 v16, v18, v16
	v_fma_f16 v18, v37, s17, -v118
	v_add_f16_e32 v57, v62, v57
	v_mul_f16_e32 v62, 0x2de8, v59
	v_sub_f16_e32 v39, v39, v66
	v_add_f16_e32 v16, v18, v16
	v_fma_f16 v18, v50, s8, -v119
	v_add_f16_e32 v62, v91, v62
	v_add_f16_e32 v34, v39, v34
	v_mul_f16_e32 v39, 0xbacd, v38
	v_add_f16_e32 v16, v18, v16
	;; [unrolled: 10-line block ×3, first 2 shown]
	v_fma_f16 v18, v65, s20, -v122
	v_add_f16_e32 v57, v62, v57
	v_mul_f16_e32 v62, 0x3722, v20
	v_sub_f16_e32 v39, v39, v79
	v_add_f16_e32 v16, v18, v16
	v_fma_f16 v18, v20, s24, v123
	v_sub_f16_e32 v54, v62, v54
	v_mul_f16_e32 v62, 0xb8d2, v28
	v_add_f16_e32 v34, v39, v34
	v_add_f16_e32 v18, v18, v0
	v_fma_f16 v39, v28, s10, v125
	v_sub_f16_e32 v58, v62, v58
	v_add_f16_e32 v54, v54, v0
	v_add_f16_e32 v18, v39, v18
	v_fma_f16 v39, v24, s11, v126
	v_add_f16_e32 v54, v58, v54
	v_mul_f16_e32 v58, 0xbbdd, v24
	v_add_f16_e32 v18, v39, v18
	v_fma_f16 v39, v29, s17, v127
	v_sub_f16_e32 v58, v58, v64
	v_add_f16_e32 v18, v39, v18
	v_fma_f16 v39, v31, s8, v128
	v_add_f16_e32 v54, v58, v54
	v_mul_f16_e32 v58, 0xb461, v29
	v_add_f16_e32 v18, v39, v18
	v_fma_f16 v39, v35, s19, v129
	v_sub_f16_e32 v58, v58, v69
	;; [unrolled: 7-line block ×3, first 2 shown]
	v_add_f16_e32 v18, v39, v18
	v_fma_f16 v39, v25, s17, -v132
	v_add_f16_e32 v54, v58, v54
	v_mul_f16_e32 v58, 0x3b76, v35
	v_add_f16_sdwa v39, v39, v0 dst_sel:DWORD dst_unused:UNUSED_PAD src0_sel:DWORD src1_sel:WORD_1
	v_fma_f16 v52, v21, s20, -v134
	v_sub_f16_e32 v58, v58, v83
	v_add_f16_e32 v39, v52, v39
	v_fma_f16 v52, v33, s8, -v135
	v_add_f16_e32 v54, v58, v54
	v_mul_f16_e32 v58, 0x2de8, v38
	v_add_f16_e32 v39, v52, v39
	v_fma_f16 v52, v37, s24, -v136
	v_sub_f16_e32 v58, v58, v87
	v_add_f16_e32 v39, v52, v39
	v_fma_f16 v52, v50, s11, -v137
	v_add_f16_e32 v54, v58, v54
	v_mul_f16_e32 v58, 0xbacd, v51
	v_add_f16_e32 v39, v52, v39
	;; [unrolled: 7-line block ×3, first 2 shown]
	v_fma_f16 v52, v65, s10, -v140
	v_add_f16_e32 v49, v49, v58
	v_mul_f16_e32 v58, 0x2de8, v21
	v_add_f16_e32 v39, v52, v39
	v_fma_f16 v52, v20, s17, v141
	v_add_f16_e32 v53, v53, v58
	v_add_f16_sdwa v49, v49, v0 dst_sel:DWORD dst_unused:UNUSED_PAD src0_sel:DWORD src1_sel:WORD_1
	v_add_f16_e32 v52, v52, v0
	v_fma_f16 v56, v28, s20, v143
	v_add_f16_e32 v49, v53, v49
	v_mul_f16_e32 v53, 0xb8d2, v33
	v_add_f16_e32 v52, v56, v52
	v_fma_f16 v56, v24, s8, v144
	v_add_f16_e32 v53, v60, v53
	v_add_f16_e32 v52, v56, v52
	v_fma_f16 v56, v29, s24, v145
	v_add_f16_e32 v49, v53, v49
	v_mul_f16_e32 v53, 0xbbdd, v37
	v_add_f16_e32 v52, v56, v52
	v_fma_f16 v56, v31, s11, v146
	v_add_f16_e32 v53, v63, v53
	;; [unrolled: 7-line block ×3, first 2 shown]
	v_add_f16_e32 v52, v56, v52
	v_fma_f16 v56, v51, s10, v149
	v_fma_f16 v25, v25, s20, -v150
	v_add_f16_e32 v49, v53, v49
	v_mul_f16_e32 v53, 0xb461, v55
	v_add_f16_e32 v52, v56, v52
	v_add_f16_sdwa v25, v25, v0 dst_sel:DWORD dst_unused:UNUSED_PAD src0_sel:DWORD src1_sel:WORD_1
	v_fma_f16 v56, v21, s24, -v152
	v_add_f16_e32 v53, v76, v53
	v_add_f16_e32 v25, v56, v25
	v_fma_f16 v33, v33, s9, -v153
	v_pk_add_f16 v1, v8, v1
	v_add_f16_e32 v49, v53, v49
	v_mul_f16_e32 v53, 0x3722, v59
	v_add_f16_e32 v25, v33, v25
	v_fma_f16 v33, v37, s10, -v154
	v_pk_add_f16 v1, v9, v1
	v_add_f16_e32 v53, v81, v53
	v_add_f16_e32 v25, v33, v25
	v_fma_f16 v33, v50, s19, -v155
	v_pk_add_f16 v1, v10, v1
	v_add_f16_e32 v49, v53, v49
	v_mul_f16_e32 v53, 0x3b76, v65
	v_add_f16_e32 v25, v33, v25
	v_fma_f16 v33, v55, s11, -v156
	v_pk_add_f16 v1, v11, v1
	v_add_f16_e32 v53, v90, v53
	s_mov_b32 s27, 0xffff
	v_add_f16_e32 v25, v33, v25
	v_fma_f16 v33, v59, s8, -v157
	v_pk_add_f16 v1, v6, v1
	v_add_f16_e32 v49, v53, v49
	v_bfi_b32 v53, s27, v95, v93
	v_add_f16_e32 v25, v33, v25
	v_fma_f16 v33, v65, s17, -v158
	v_pk_add_f16 v1, v7, v1
	v_bfi_b32 v58, s27, v97, v96
	v_add_f16_e32 v25, v33, v25
	v_fma_f16 v33, v20, s20, v159
	v_pk_add_f16 v1, v2, v1
	v_pk_add_f16 v2, v53, v117
	v_bfi_b32 v60, s27, v99, v98
	v_add_f16_e32 v0, v33, v0
	v_fma_f16 v28, v28, s24, v161
	v_pk_add_f16 v2, v58, v2
	v_bfi_b32 v62, s27, v102, v101
	v_add_f16_e32 v0, v28, v0
	v_fma_f16 v28, v24, s9, v162
	;; [unrolled: 4-line block ×6, first 2 shown]
	v_pk_add_f16 v2, v68, v2
	v_add_f16_e32 v0, v28, v0
	v_fma_f16 v28, v51, s17, v167
	v_pk_add_f16 v2, v69, v2
	v_add_f16_e32 v0, v28, v0
	v_lshlrev_b32_e32 v28, 2, v43
	v_pk_add_f16 v1, v3, v1
	v_alignbit_b32 v3, v49, v2, 16
	v_pack_b32_f16 v2, v34, v2
	v_pk_add_f16 v1, v4, v1
	ds_write2_b32 v28, v2, v3 offset0:1 offset1:2
	v_pack_b32_f16 v2, v67, v74
	v_pack_b32_f16 v3, v54, v57
	v_pk_add_f16 v1, v5, v1
	ds_write2_b32 v28, v3, v2 offset0:3 offset1:4
	v_pack_b32_f16 v2, v142, v133
	;; [unrolled: 4-line block ×3, first 2 shown]
	ds_write2_b32 v28, v1, v2 offset1:7
	v_pk_mul_f16 v1, v20, s19 op_sel_hi:[1,0]
	v_pk_fma_f16 v2, v17, s18, v1 op_sel:[0,0,1] op_sel_hi:[1,0,0] neg_lo:[1,0,0] neg_hi:[1,0,0]
	v_pk_mul_f16 v3, v22, s22 op_sel_hi:[1,0]
	v_pk_add_f16 v2, v2, v117
	v_pk_fma_f16 v4, v21, s8, v3 op_sel_hi:[1,0,1] neg_lo:[0,0,1] neg_hi:[0,0,1]
	v_pk_add_f16 v2, v4, v2
	v_pk_mul_f16 v4, v24, s24 op_sel_hi:[1,0]
	v_pk_fma_f16 v5, v23, s25, v4 op_sel:[0,0,1] op_sel_hi:[1,0,0] neg_lo:[1,0,0] neg_hi:[1,0,0]
	v_pk_add_f16 v2, v5, v2
	v_pk_mul_f16 v5, v29, s9 op_sel_hi:[1,0]
	v_pk_fma_f16 v6, v27, s23, v5 op_sel:[0,0,1] op_sel_hi:[1,0,0] neg_lo:[1,0,0] neg_hi:[1,0,0]
	v_pk_add_f16 v2, v6, v2
	v_pk_mul_f16 v6, v31, s17 op_sel_hi:[1,0]
	v_pk_fma_f16 v1, v17, s18, v1 op_sel:[0,0,1] op_sel_hi:[1,0,0]
	v_pk_fma_f16 v7, v30, s16, v6 op_sel:[0,0,1] op_sel_hi:[1,0,0] neg_lo:[1,0,0] neg_hi:[1,0,0]
	v_pk_add_f16 v1, v1, v117
	v_pk_fma_f16 v3, v21, s8, v3 op_sel_hi:[1,0,1]
	v_pk_add_f16 v2, v7, v2
	v_pk_mul_f16 v7, v35, s10 op_sel_hi:[1,0]
	v_pk_add_f16 v1, v3, v1
	v_pk_fma_f16 v3, v23, s25, v4 op_sel:[0,0,1] op_sel_hi:[1,0,0]
	v_pk_fma_f16 v8, v32, s26, v7 op_sel:[0,0,1] op_sel_hi:[1,0,0] neg_lo:[1,0,0] neg_hi:[1,0,0]
	v_pk_add_f16 v1, v3, v1
	v_pk_fma_f16 v3, v27, s23, v5 op_sel:[0,0,1] op_sel_hi:[1,0,0]
	v_pk_add_f16 v2, v8, v2
	v_pk_mul_f16 v8, v38, s20 op_sel_hi:[1,0]
	v_pk_add_f16 v1, v3, v1
	v_pk_fma_f16 v3, v30, s16, v6 op_sel:[0,0,1] op_sel_hi:[1,0,0]
	v_pk_fma_f16 v9, v36, s21, v8 op_sel:[0,0,1] op_sel_hi:[1,0,0] neg_lo:[1,0,0] neg_hi:[1,0,0]
	v_pk_add_f16 v1, v3, v1
	v_pk_fma_f16 v3, v32, s26, v7 op_sel:[0,0,1] op_sel_hi:[1,0,0]
	;; [unrolled: 7-line block ×3, first 2 shown]
	v_pk_add_f16 v2, v10, v2
	v_pk_add_f16 v1, v3, v1
	v_alignbit_b32 v3, v2, v1, 16
	v_alignbit_b32 v1, v1, v2, 16
	ds_write2_b32 v28, v1, v3 offset0:8 offset1:9
	v_pack_b32_f16 v1, v52, v39
	v_pack_b32_f16 v2, v18, v16
	s_mov_b32 s8, 0x5040100
	ds_write2_b32 v28, v2, v1 offset0:10 offset1:11
	v_pack_b32_f16 v0, v0, v25
	v_perm_b32 v1, v48, v26, s8
	ds_write2_b32 v28, v0, v1 offset0:12 offset1:13
	v_perm_b32 v0, v45, v14, s8
	v_perm_b32 v1, v40, v13, s8
	ds_write2_b32 v28, v1, v0 offset0:14 offset1:15
	v_perm_b32 v0, v46, v44, s8
	ds_write_b32 v28, v0 offset:64
.LBB0_7:
	s_or_b64 exec, exec, s[4:5]
	s_load_dwordx4 s[8:11], s[2:3], 0x0
	s_movk_i32 s2, 0xf1
	v_mul_lo_u16_sdwa v0, v42, s2 dst_sel:DWORD dst_unused:UNUSED_PAD src0_sel:BYTE_0 src1_sel:DWORD
	v_lshrrev_b16_e32 v15, 12, v0
	v_mul_lo_u16_e32 v0, 17, v15
	v_sub_u16_e32 v0, v42, v0
	v_and_b32_e32 v16, 0xff, v0
	v_mul_u32_u24_e32 v0, 12, v16
	v_lshlrev_b32_e32 v17, 2, v0
	s_waitcnt lgkmcnt(0)
	; wave barrier
	s_waitcnt lgkmcnt(0)
	global_load_dwordx4 v[0:3], v17, s[14:15]
	global_load_dwordx4 v[4:7], v17, s[14:15] offset:16
	global_load_dwordx4 v[8:11], v17, s[14:15] offset:32
	ds_read2_b32 v[17:18], v41 offset1:51
	ds_read2_b32 v[19:20], v41 offset0:102 offset1:153
	ds_read2_b32 v[21:22], v41 offset0:204 offset1:255
	v_add_u32_e32 v25, 0x600, v41
	v_add_u32_e32 v49, 0x400, v41
	ds_read_b32 v31, v41 offset:2448
	ds_read2_b32 v[23:24], v49 offset0:50 offset1:101
	ds_read2_b32 v[27:28], v49 offset0:152 offset1:203
	;; [unrolled: 1-line block ×3, first 2 shown]
	s_waitcnt lgkmcnt(6)
	v_lshrrev_b32_e32 v25, 16, v18
	s_waitcnt lgkmcnt(5)
	v_lshrrev_b32_e32 v32, 16, v19
	v_lshrrev_b32_e32 v33, 16, v20
	s_waitcnt lgkmcnt(4)
	v_lshrrev_b32_e32 v34, 16, v21
	;; [unrolled: 3-line block ×5, first 2 shown]
	v_lshrrev_b32_e32 v36, 16, v31
	v_lshrrev_b32_e32 v51, 16, v30
	s_movk_i32 s4, 0x3b15
	s_movk_i32 s3, 0x388b
	;; [unrolled: 1-line block ×3, first 2 shown]
	s_mov_b32 s5, 0xb5ac
	s_mov_b32 s16, 0xb9fd
	;; [unrolled: 1-line block ×3, first 2 shown]
	v_mul_u32_u24_e32 v15, 0xdd, v15
	s_waitcnt lgkmcnt(0)
	; wave barrier
	s_waitcnt vmcnt(2)
	v_mul_f16_sdwa v52, v25, v0 dst_sel:DWORD dst_unused:UNUSED_PAD src0_sel:DWORD src1_sel:WORD_1
	v_mul_f16_sdwa v53, v18, v0 dst_sel:DWORD dst_unused:UNUSED_PAD src0_sel:DWORD src1_sel:WORD_1
	;; [unrolled: 1-line block ×3, first 2 shown]
	v_fma_f16 v18, v18, v0, -v52
	v_mul_f16_sdwa v55, v19, v1 dst_sel:DWORD dst_unused:UNUSED_PAD src0_sel:DWORD src1_sel:WORD_1
	v_mul_f16_sdwa v56, v33, v2 dst_sel:DWORD dst_unused:UNUSED_PAD src0_sel:DWORD src1_sel:WORD_1
	v_fma_f16 v25, v25, v0, v53
	v_fma_f16 v19, v19, v1, -v54
	v_add_f16_e32 v52, v17, v18
	v_mul_f16_sdwa v57, v20, v2 dst_sel:DWORD dst_unused:UNUSED_PAD src0_sel:DWORD src1_sel:WORD_1
	v_mul_f16_sdwa v58, v34, v3 dst_sel:DWORD dst_unused:UNUSED_PAD src0_sel:DWORD src1_sel:WORD_1
	v_fma_f16 v32, v32, v1, v55
	v_fma_f16 v20, v20, v2, -v56
	v_add_f16_sdwa v53, v17, v25 dst_sel:DWORD dst_unused:UNUSED_PAD src0_sel:WORD_1 src1_sel:DWORD
	v_add_f16_e32 v52, v52, v19
	v_mul_f16_sdwa v59, v21, v3 dst_sel:DWORD dst_unused:UNUSED_PAD src0_sel:DWORD src1_sel:WORD_1
	s_waitcnt vmcnt(1)
	v_mul_f16_sdwa v60, v35, v4 dst_sel:DWORD dst_unused:UNUSED_PAD src0_sel:DWORD src1_sel:WORD_1
	v_fma_f16 v33, v33, v2, v57
	v_fma_f16 v21, v21, v3, -v58
	v_add_f16_e32 v53, v53, v32
	v_add_f16_e32 v52, v52, v20
	v_mul_f16_sdwa v61, v22, v4 dst_sel:DWORD dst_unused:UNUSED_PAD src0_sel:DWORD src1_sel:WORD_1
	v_mul_f16_sdwa v62, v37, v5 dst_sel:DWORD dst_unused:UNUSED_PAD src0_sel:DWORD src1_sel:WORD_1
	v_fma_f16 v34, v34, v3, v59
	v_fma_f16 v22, v22, v4, -v60
	v_add_f16_e32 v53, v53, v33
	v_add_f16_e32 v52, v52, v21
	v_mul_f16_sdwa v63, v23, v5 dst_sel:DWORD dst_unused:UNUSED_PAD src0_sel:DWORD src1_sel:WORD_1
	;; [unrolled: 6-line block ×4, first 2 shown]
	s_waitcnt vmcnt(0)
	v_mul_f16_sdwa v68, v47, v8 dst_sel:DWORD dst_unused:UNUSED_PAD src0_sel:DWORD src1_sel:WORD_1
	v_fma_f16 v38, v38, v6, v65
	v_fma_f16 v27, v27, v7, -v66
	v_add_f16_e32 v53, v53, v37
	v_add_f16_e32 v52, v52, v24
	v_mul_f16_sdwa v69, v28, v8 dst_sel:DWORD dst_unused:UNUSED_PAD src0_sel:DWORD src1_sel:WORD_1
	v_mul_f16_sdwa v70, v50, v9 dst_sel:DWORD dst_unused:UNUSED_PAD src0_sel:DWORD src1_sel:WORD_1
	v_fma_f16 v39, v39, v7, v67
	v_fma_f16 v28, v28, v8, -v68
	v_add_f16_e32 v53, v53, v38
	v_add_f16_e32 v52, v52, v27
	v_mul_f16_sdwa v71, v29, v9 dst_sel:DWORD dst_unused:UNUSED_PAD src0_sel:DWORD src1_sel:WORD_1
	v_mul_f16_sdwa v72, v51, v10 dst_sel:DWORD dst_unused:UNUSED_PAD src0_sel:DWORD src1_sel:WORD_1
	;; [unrolled: 1-line block ×4, first 2 shown]
	v_fma_f16 v47, v47, v8, v69
	v_fma_f16 v29, v29, v9, -v70
	v_add_f16_e32 v53, v53, v39
	v_add_f16_e32 v52, v52, v28
	v_mul_f16_sdwa v73, v30, v10 dst_sel:DWORD dst_unused:UNUSED_PAD src0_sel:DWORD src1_sel:WORD_1
	v_fma_f16 v50, v50, v9, v71
	v_fma_f16 v30, v30, v10, -v72
	v_fma_f16 v31, v31, v11, -v74
	v_fma_f16 v36, v36, v11, v75
	v_add_f16_e32 v53, v53, v47
	v_add_f16_e32 v52, v52, v29
	v_fma_f16 v51, v51, v10, v73
	v_add_f16_e32 v53, v53, v50
	v_add_f16_e32 v52, v52, v30
	v_add_f16_e32 v54, v18, v31
	v_add_f16_e32 v55, v25, v36
	v_sub_f16_e32 v18, v18, v31
	v_sub_f16_e32 v25, v25, v36
	v_add_f16_e32 v53, v53, v51
	v_add_f16_e32 v52, v52, v31
	v_mul_f16_e32 v31, 0xb770, v25
	v_mul_f16_e32 v56, 0xb770, v18
	;; [unrolled: 1-line block ×12, first 2 shown]
	v_add_f16_e32 v53, v53, v36
	v_fma_f16 v36, v54, s4, -v31
	v_fma_f16 v57, v55, s4, v56
	v_fma_f16 v31, v54, s4, v31
	v_fma_f16 v56, v55, s4, -v56
	v_fma_f16 v59, v54, s3, -v58
	v_fma_f16 v61, v55, s3, v60
	v_fma_f16 v58, v54, s3, v58
	v_fma_f16 v60, v55, s3, -v60
	v_fma_f16 v63, v54, s2, -v62
	v_fma_f16 v65, v55, s2, v64
	v_fma_f16 v62, v54, s2, v62
	v_fma_f16 v64, v55, s2, -v64
	v_fma_f16 v67, v54, s5, -v66
	v_fma_f16 v69, v55, s5, v68
	v_fma_f16 v66, v54, s5, v66
	v_fma_f16 v68, v55, s5, -v68
	v_fma_f16 v71, v54, s16, -v70
	v_fma_f16 v73, v55, s16, v72
	v_fma_f16 v70, v54, s16, v70
	v_fma_f16 v72, v55, s16, -v72
	v_fma_f16 v74, v54, s17, -v25
	v_fma_f16 v75, v55, s17, v18
	v_fma_f16 v25, v54, s17, v25
	v_fma_f16 v18, v55, s17, -v18
	v_add_f16_e32 v36, v17, v36
	v_add_f16_sdwa v57, v17, v57 dst_sel:DWORD dst_unused:UNUSED_PAD src0_sel:WORD_1 src1_sel:DWORD
	v_add_f16_e32 v31, v17, v31
	v_add_f16_sdwa v56, v17, v56 dst_sel:DWORD dst_unused:UNUSED_PAD src0_sel:WORD_1 src1_sel:DWORD
	;; [unrolled: 2-line block ×12, first 2 shown]
	v_add_f16_e32 v18, v19, v30
	v_sub_f16_e32 v19, v19, v30
	v_sub_f16_e32 v30, v32, v51
	v_add_f16_e32 v54, v32, v51
	v_mul_f16_e32 v32, 0xba95, v30
	v_fma_f16 v51, v18, s3, -v32
	v_add_f16_e32 v36, v51, v36
	v_mul_f16_e32 v51, 0xba95, v19
	v_fma_f16 v32, v18, s3, v32
	v_fma_f16 v55, v54, s3, v51
	v_add_f16_e32 v31, v32, v31
	v_fma_f16 v32, v54, s3, -v51
	v_mul_f16_e32 v51, 0xbb7b, v30
	v_add_f16_e32 v55, v55, v57
	v_add_f16_e32 v32, v32, v56
	v_fma_f16 v56, v18, s5, -v51
	v_mul_f16_e32 v57, 0xbb7b, v19
	v_fma_f16 v51, v18, s5, v51
	v_add_f16_e32 v56, v56, v59
	v_fma_f16 v59, v54, s5, v57
	v_add_f16_e32 v51, v51, v58
	v_fma_f16 v57, v54, s5, -v57
	v_mul_f16_e32 v58, 0xb3a8, v30
	v_add_f16_e32 v59, v59, v61
	v_add_f16_e32 v57, v57, v60
	v_fma_f16 v60, v18, s17, -v58
	v_mul_f16_e32 v61, 0xb3a8, v19
	v_fma_f16 v58, v18, s17, v58
	v_add_f16_e32 v60, v60, v63
	;; [unrolled: 10-line block ×3, first 2 shown]
	v_fma_f16 v67, v54, s16, v65
	v_add_f16_e32 v62, v62, v66
	v_fma_f16 v65, v54, s16, -v65
	v_mul_f16_e32 v66, 0x3bf1, v30
	v_add_f16_e32 v67, v67, v69
	v_add_f16_e32 v65, v65, v68
	v_fma_f16 v68, v18, s2, -v66
	v_mul_f16_e32 v69, 0x3bf1, v19
	v_add_f16_e32 v68, v68, v71
	v_fma_f16 v71, v54, s2, v69
	v_fma_f16 v69, v54, s2, -v69
	v_mul_f16_e32 v19, 0x3770, v19
	v_add_f16_e32 v69, v69, v72
	v_fma_f16 v72, v54, s4, v19
	v_fma_f16 v19, v54, s4, -v19
	v_fma_f16 v66, v18, s2, v66
	v_mul_f16_e32 v30, 0x3770, v30
	v_add_f16_e32 v17, v19, v17
	v_add_f16_e32 v19, v20, v29
	v_sub_f16_e32 v20, v20, v29
	v_sub_f16_e32 v29, v33, v50
	v_add_f16_e32 v66, v66, v70
	v_fma_f16 v70, v18, s4, -v30
	v_fma_f16 v18, v18, s4, v30
	v_mul_f16_e32 v30, 0xbbf1, v29
	v_add_f16_e32 v18, v18, v25
	v_add_f16_e32 v25, v33, v50
	v_fma_f16 v33, v19, s2, -v30
	v_add_f16_e32 v33, v33, v36
	v_mul_f16_e32 v36, 0xbbf1, v20
	v_fma_f16 v30, v19, s2, v30
	v_add_f16_e32 v30, v30, v31
	v_fma_f16 v31, v25, s2, -v36
	v_add_f16_e32 v31, v31, v32
	v_mul_f16_e32 v32, 0xb3a8, v29
	v_fma_f16 v50, v25, s2, v36
	v_fma_f16 v36, v19, s17, -v32
	v_mul_f16_e32 v54, 0xb3a8, v20
	v_fma_f16 v32, v19, s17, v32
	v_add_f16_e32 v50, v50, v55
	v_fma_f16 v55, v25, s17, v54
	v_add_f16_e32 v32, v32, v51
	v_fma_f16 v51, v25, s17, -v54
	v_mul_f16_e32 v54, 0x3b7b, v29
	v_add_f16_e32 v36, v36, v56
	v_fma_f16 v56, v19, s5, -v54
	v_fma_f16 v54, v19, s5, v54
	v_add_f16_e32 v51, v51, v57
	v_mul_f16_e32 v57, 0x3b7b, v20
	v_add_f16_e32 v54, v54, v58
	v_mul_f16_e32 v58, 0x3770, v29
	v_add_f16_e32 v55, v55, v59
	v_add_f16_e32 v56, v56, v60
	v_fma_f16 v59, v25, s5, v57
	v_fma_f16 v57, v25, s5, -v57
	v_fma_f16 v60, v19, s4, -v58
	v_fma_f16 v58, v19, s4, v58
	v_add_f16_e32 v57, v57, v61
	v_mul_f16_e32 v61, 0x3770, v20
	v_add_f16_e32 v58, v58, v62
	v_mul_f16_e32 v62, 0xba95, v29
	v_add_f16_e32 v59, v59, v63
	v_add_f16_e32 v60, v60, v64
	v_fma_f16 v63, v25, s4, v61
	v_fma_f16 v61, v25, s4, -v61
	v_fma_f16 v64, v19, s3, -v62
	v_fma_f16 v62, v19, s3, v62
	v_mul_f16_e32 v29, 0xb94e, v29
	v_add_f16_e32 v61, v61, v65
	v_mul_f16_e32 v65, 0xba95, v20
	v_add_f16_e32 v62, v62, v66
	v_fma_f16 v66, v19, s16, -v29
	v_mul_f16_e32 v20, 0xb94e, v20
	v_fma_f16 v19, v19, s16, v29
	v_add_f16_e32 v63, v63, v67
	v_add_f16_e32 v64, v64, v68
	v_fma_f16 v67, v25, s3, v65
	v_fma_f16 v65, v25, s3, -v65
	v_fma_f16 v68, v25, s16, v20
	v_add_f16_e32 v18, v19, v18
	v_fma_f16 v19, v25, s16, -v20
	v_sub_f16_e32 v25, v34, v47
	v_add_f16_e32 v17, v19, v17
	v_add_f16_e32 v19, v21, v28
	v_sub_f16_e32 v21, v21, v28
	v_mul_f16_e32 v28, 0xbb7b, v25
	v_fma_f16 v29, v19, s5, -v28
	v_add_f16_e32 v20, v34, v47
	v_add_f16_e32 v29, v29, v33
	v_mul_f16_e32 v33, 0xbb7b, v21
	v_fma_f16 v28, v19, s5, v28
	v_add_f16_e32 v28, v28, v30
	v_fma_f16 v30, v20, s5, -v33
	v_add_f16_e32 v30, v30, v31
	v_mul_f16_e32 v31, 0x394e, v25
	v_fma_f16 v34, v20, s5, v33
	v_fma_f16 v33, v19, s16, -v31
	v_add_f16_e32 v33, v33, v36
	v_mul_f16_e32 v36, 0x394e, v21
	v_fma_f16 v31, v19, s16, v31
	v_fma_f16 v47, v20, s16, v36
	v_add_f16_e32 v31, v31, v32
	v_fma_f16 v32, v20, s16, -v36
	v_mul_f16_e32 v36, 0x3770, v25
	v_add_f16_e32 v34, v34, v50
	v_fma_f16 v50, v19, s4, -v36
	v_fma_f16 v36, v19, s4, v36
	v_add_f16_e32 v32, v32, v51
	v_mul_f16_e32 v51, 0x3770, v21
	v_add_f16_e32 v36, v36, v54
	v_mul_f16_e32 v54, 0xbbf1, v25
	v_add_f16_e32 v47, v47, v55
	v_add_f16_e32 v50, v50, v56
	v_fma_f16 v55, v20, s4, v51
	v_fma_f16 v51, v20, s4, -v51
	v_fma_f16 v56, v19, s2, -v54
	v_fma_f16 v54, v19, s2, v54
	v_add_f16_e32 v51, v51, v57
	v_mul_f16_e32 v57, 0xbbf1, v21
	v_add_f16_e32 v54, v54, v58
	v_mul_f16_e32 v58, 0x33a8, v25
	v_add_f16_e32 v55, v55, v59
	v_add_f16_e32 v56, v56, v60
	v_fma_f16 v59, v20, s2, v57
	v_fma_f16 v57, v20, s2, -v57
	v_fma_f16 v60, v19, s17, -v58
	v_fma_f16 v58, v19, s17, v58
	v_mul_f16_e32 v25, 0x3a95, v25
	v_add_f16_e32 v57, v57, v61
	v_mul_f16_e32 v61, 0x33a8, v21
	v_add_f16_e32 v58, v58, v62
	v_fma_f16 v62, v19, s3, -v25
	v_mul_f16_e32 v21, 0x3a95, v21
	v_fma_f16 v19, v19, s3, v25
	v_add_f16_e32 v18, v19, v18
	v_fma_f16 v19, v20, s3, -v21
	v_add_f16_e32 v60, v60, v64
	v_fma_f16 v64, v20, s3, v21
	v_add_f16_e32 v17, v19, v17
	v_add_f16_e32 v19, v22, v27
	v_sub_f16_e32 v21, v22, v27
	v_sub_f16_e32 v22, v35, v39
	v_mul_f16_e32 v25, 0xb94e, v22
	v_fma_f16 v27, v19, s16, -v25
	v_add_f16_e32 v59, v59, v63
	v_fma_f16 v63, v20, s17, v61
	v_fma_f16 v61, v20, s17, -v61
	v_add_f16_e32 v20, v35, v39
	v_add_f16_e32 v27, v27, v29
	v_mul_f16_e32 v29, 0xb94e, v21
	v_fma_f16 v25, v19, s16, v25
	v_fma_f16 v35, v20, s16, v29
	v_add_f16_e32 v25, v25, v28
	v_fma_f16 v28, v20, s16, -v29
	v_mul_f16_e32 v29, 0x3bf1, v22
	v_add_f16_e32 v28, v28, v30
	v_fma_f16 v30, v19, s2, -v29
	v_add_f16_e32 v30, v30, v33
	v_mul_f16_e32 v33, 0x3bf1, v21
	v_fma_f16 v29, v19, s2, v29
	v_add_f16_e32 v29, v29, v31
	v_fma_f16 v31, v20, s2, -v33
	v_add_f16_e32 v31, v31, v32
	v_mul_f16_e32 v32, 0xba95, v22
	v_add_f16_e32 v34, v35, v34
	v_fma_f16 v35, v20, s2, v33
	v_fma_f16 v33, v19, s3, -v32
	v_mul_f16_e32 v39, 0xba95, v21
	v_fma_f16 v32, v19, s3, v32
	v_add_f16_e32 v35, v35, v47
	v_fma_f16 v47, v20, s3, v39
	v_add_f16_e32 v32, v32, v36
	v_fma_f16 v36, v20, s3, -v39
	v_mul_f16_e32 v39, 0x33a8, v22
	v_add_f16_e32 v33, v33, v50
	v_fma_f16 v50, v19, s17, -v39
	v_add_f16_e32 v36, v36, v51
	v_add_f16_e32 v51, v50, v56
	v_mul_f16_e32 v50, 0x33a8, v21
	v_add_f16_e32 v47, v47, v55
	v_fma_f16 v55, v20, s17, v50
	v_fma_f16 v39, v19, s17, v39
	v_fma_f16 v50, v20, s17, -v50
	v_add_f16_e32 v39, v39, v54
	v_add_f16_e32 v54, v50, v57
	v_mul_f16_e32 v50, 0x3770, v22
	v_add_f16_e32 v65, v65, v69
	v_fma_f16 v56, v19, s4, -v50
	v_mul_f16_e32 v57, 0x3770, v21
	v_fma_f16 v50, v19, s4, v50
	v_add_f16_e32 v70, v70, v74
	v_add_f16_e32 v61, v61, v65
	;; [unrolled: 1-line block ×3, first 2 shown]
	v_fma_f16 v50, v20, s4, -v57
	v_mul_f16_e32 v22, 0xbb7b, v22
	v_add_f16_e32 v66, v66, v70
	v_add_f16_e32 v55, v55, v59
	v_fma_f16 v59, v20, s4, v57
	v_add_f16_e32 v57, v50, v61
	v_fma_f16 v50, v19, s5, -v22
	v_mul_f16_e32 v21, 0xbb7b, v21
	v_fma_f16 v19, v19, s5, v22
	v_add_f16_e32 v62, v62, v66
	v_add_f16_e32 v18, v19, v18
	v_fma_f16 v19, v20, s5, -v21
	v_sub_f16_e32 v22, v37, v38
	v_add_f16_e32 v56, v56, v60
	v_add_f16_e32 v60, v50, v62
	v_fma_f16 v50, v20, s5, v21
	v_add_f16_e32 v17, v19, v17
	v_add_f16_e32 v19, v23, v24
	v_sub_f16_e32 v21, v23, v24
	v_mul_f16_e32 v23, 0xb3a8, v22
	v_add_f16_e32 v72, v72, v75
	v_fma_f16 v24, v19, s17, -v23
	v_add_f16_e32 v68, v68, v72
	v_add_f16_e32 v20, v37, v38
	;; [unrolled: 1-line block ×3, first 2 shown]
	v_mul_f16_e32 v27, 0xb3a8, v21
	v_fma_f16 v23, v19, s17, v23
	v_add_f16_e32 v64, v64, v68
	v_add_f16_e32 v25, v23, v25
	v_fma_f16 v23, v20, s17, -v27
	v_add_f16_e32 v61, v50, v64
	v_add_f16_e32 v50, v23, v28
	v_mul_f16_e32 v23, 0x3770, v22
	v_fma_f16 v37, v20, s17, v27
	v_fma_f16 v27, v19, s4, -v23
	v_mul_f16_e32 v28, 0x3770, v21
	v_fma_f16 v23, v19, s4, v23
	v_add_f16_e32 v27, v27, v30
	v_fma_f16 v30, v20, s4, v28
	v_add_f16_e32 v23, v23, v29
	v_fma_f16 v28, v20, s4, -v28
	v_mul_f16_e32 v29, 0xb94e, v22
	v_add_f16_e32 v28, v28, v31
	v_fma_f16 v31, v19, s16, -v29
	v_add_f16_e32 v31, v31, v33
	v_mul_f16_e32 v33, 0xb94e, v21
	v_fma_f16 v29, v19, s16, v29
	v_add_f16_e32 v30, v30, v35
	v_fma_f16 v35, v20, s16, v33
	v_add_f16_e32 v29, v29, v32
	v_fma_f16 v32, v20, s16, -v33
	v_mul_f16_e32 v33, 0x3a95, v22
	v_add_f16_e32 v32, v32, v36
	v_fma_f16 v36, v19, s3, -v33
	v_fma_f16 v33, v19, s3, v33
	v_add_f16_e32 v33, v33, v39
	v_mul_f16_e32 v39, 0xbb7b, v22
	v_add_f16_e32 v34, v37, v34
	v_add_f16_e32 v35, v35, v47
	v_mul_f16_e32 v37, 0x3a95, v21
	v_fma_f16 v47, v19, s5, -v39
	v_add_f16_e32 v36, v36, v51
	v_fma_f16 v38, v20, s3, v37
	v_fma_f16 v37, v20, s3, -v37
	v_add_f16_e32 v51, v47, v56
	v_mul_f16_e32 v47, 0xbb7b, v21
	v_add_f16_e32 v71, v71, v73
	v_add_f16_e32 v37, v37, v54
	v_fma_f16 v54, v20, s5, v47
	v_fma_f16 v47, v20, s5, -v47
	v_mul_f16_e32 v22, 0x3bf1, v22
	v_add_f16_e32 v67, v67, v71
	v_add_f16_e32 v38, v38, v55
	;; [unrolled: 1-line block ×3, first 2 shown]
	v_fma_f16 v47, v19, s2, -v22
	v_mul_f16_e32 v21, 0x3bf1, v21
	v_add_f16_e32 v63, v63, v67
	v_add_f16_e32 v56, v47, v60
	v_fma_f16 v47, v20, s2, v21
	v_add_f16_e32 v59, v59, v63
	v_fma_f16 v39, v19, s5, v39
	;; [unrolled: 2-line block ×3, first 2 shown]
	v_add_lshl_u32 v47, v15, v16, 2
	v_pack_b32_f16 v15, v52, v53
	v_pack_b32_f16 v16, v24, v34
	v_add_f16_e32 v54, v54, v59
	v_add_f16_e32 v18, v19, v18
	v_fma_f16 v19, v20, s2, -v21
	ds_write2_b32 v47, v15, v16 offset1:17
	v_pack_b32_f16 v15, v27, v30
	v_pack_b32_f16 v16, v31, v35
	v_add_f16_e32 v17, v19, v17
	ds_write2_b32 v47, v15, v16 offset0:34 offset1:51
	v_pack_b32_f16 v15, v36, v38
	v_pack_b32_f16 v16, v51, v54
	v_add_f16_e32 v39, v39, v58
	ds_write2_b32 v47, v15, v16 offset0:68 offset1:85
	v_pack_b32_f16 v15, v56, v57
	v_pack_b32_f16 v16, v18, v17
	ds_write2_b32 v47, v15, v16 offset0:102 offset1:119
	v_pack_b32_f16 v15, v39, v55
	v_pack_b32_f16 v16, v33, v37
	ds_write2_b32 v47, v15, v16 offset0:136 offset1:153
	v_pack_b32_f16 v15, v29, v32
	v_pack_b32_f16 v16, v23, v28
	ds_write2_b32 v47, v15, v16 offset0:170 offset1:187
	v_pack_b32_f16 v15, v25, v50
	v_add_u32_e32 v65, 0x200, v41
	ds_write_b32 v47, v15 offset:816
	s_waitcnt lgkmcnt(0)
	; wave barrier
	s_waitcnt lgkmcnt(0)
	ds_read2_b32 v[30:31], v41 offset1:51
	ds_read2_b32 v[32:33], v65 offset0:93 offset1:144
	ds_read2_b32 v[34:35], v49 offset0:186 offset1:237
	;; [unrolled: 1-line block ×4, first 2 shown]
	v_add_u32_e32 v66, 0x800, v41
	ds_read2_b32 v[38:39], v66 offset0:32 offset1:83
	v_cmp_gt_u16_e64 s[2:3], 17, v42
	s_and_saveexec_b64 s[4:5], s[2:3]
	s_cbranch_execz .LBB0_9
; %bb.8:
	v_add_u32_e32 v13, 0x300, v41
	ds_read2_b32 v[25:26], v13 offset0:12 offset1:233
	ds_read_b32 v13, v41 offset:2584
	s_waitcnt lgkmcnt(1)
	v_lshrrev_b32_e32 v50, 16, v25
	v_lshrrev_b32_e32 v48, 16, v26
	s_waitcnt lgkmcnt(0)
	v_lshrrev_b32_e32 v40, 16, v13
.LBB0_9:
	s_or_b64 exec, exec, s[4:5]
	v_lshlrev_b32_e32 v15, 3, v42
	v_add_u32_e32 v16, 0x198, v15
	global_load_dwordx2 v[17:18], v15, s[14:15] offset:816
	global_load_dwordx2 v[19:20], v16, s[14:15] offset:816
	v_add_u32_e32 v16, 0x330, v15
	v_add_u32_e32 v15, 0x4c8, v15
	global_load_dwordx2 v[21:22], v16, s[14:15] offset:816
	global_load_dwordx2 v[23:24], v15, s[14:15] offset:816
	v_add_co_u32_e32 v15, vcc, 0xcc, v42
	s_movk_i32 s16, 0xffef
	v_addc_co_u32_e64 v16, s[4:5], 0, 0, vcc
	v_add_co_u32_e32 v51, vcc, s16, v42
	v_addc_co_u32_e64 v52, s[4:5], 0, -1, vcc
	v_cndmask_b32_e64 v16, v52, v16, s[2:3]
	v_cndmask_b32_e64 v15, v51, v15, s[2:3]
	v_lshlrev_b64 v[15:16], 3, v[15:16]
	v_mov_b32_e32 v29, s15
	v_add_co_u32_e32 v15, vcc, s14, v15
	v_addc_co_u32_e32 v16, vcc, v29, v16, vcc
	global_load_dwordx2 v[15:16], v[15:16], off offset:816
	s_waitcnt lgkmcnt(4)
	v_lshrrev_b32_e32 v29, 16, v32
	s_waitcnt lgkmcnt(3)
	v_lshrrev_b32_e32 v51, 16, v34
	;; [unrolled: 2-line block ×3, first 2 shown]
	v_lshrrev_b32_e32 v59, 16, v28
	v_lshrrev_b32_e32 v53, 16, v33
	;; [unrolled: 1-line block ×5, first 2 shown]
	s_movk_i32 s4, 0x3aee
	s_mov_b32 s5, 0xbaee
	v_lshrrev_b32_e32 v55, 16, v31
	v_lshrrev_b32_e32 v60, 16, v39
	;; [unrolled: 1-line block ×4, first 2 shown]
	s_waitcnt vmcnt(4)
	v_mul_f16_sdwa v62, v29, v17 dst_sel:DWORD dst_unused:UNUSED_PAD src0_sel:DWORD src1_sel:WORD_1
	v_mul_f16_sdwa v63, v32, v17 dst_sel:DWORD dst_unused:UNUSED_PAD src0_sel:DWORD src1_sel:WORD_1
	;; [unrolled: 1-line block ×4, first 2 shown]
	v_fma_f16 v32, v32, v17, -v62
	v_fma_f16 v62, v29, v17, v63
	v_fma_f16 v34, v34, v18, -v64
	v_fma_f16 v63, v51, v18, v67
	s_waitcnt vmcnt(3)
	v_mul_f16_sdwa v51, v33, v19 dst_sel:DWORD dst_unused:UNUSED_PAD src0_sel:DWORD src1_sel:WORD_1
	s_waitcnt vmcnt(2)
	v_mul_f16_sdwa v70, v57, v22 dst_sel:DWORD dst_unused:UNUSED_PAD src0_sel:DWORD src1_sel:WORD_1
	s_waitcnt vmcnt(1)
	v_mul_f16_sdwa v72, v59, v23 dst_sel:DWORD dst_unused:UNUSED_PAD src0_sel:DWORD src1_sel:WORD_1
	v_mul_f16_sdwa v29, v53, v19 dst_sel:DWORD dst_unused:UNUSED_PAD src0_sel:DWORD src1_sel:WORD_1
	v_mul_f16_sdwa v64, v54, v20 dst_sel:DWORD dst_unused:UNUSED_PAD src0_sel:DWORD src1_sel:WORD_1
	;; [unrolled: 1-line block ×7, first 2 shown]
	v_fma_f16 v76, v53, v19, v51
	v_fma_f16 v38, v38, v22, -v70
	v_fma_f16 v70, v28, v23, -v72
	v_add_f16_e32 v28, v32, v34
	v_fma_f16 v33, v33, v19, -v29
	s_waitcnt vmcnt(0)
	v_mul_f16_sdwa v53, v40, v16 dst_sel:DWORD dst_unused:UNUSED_PAD src0_sel:DWORD src1_sel:WORD_1
	v_fma_f16 v35, v35, v20, -v64
	v_fma_f16 v64, v54, v20, v67
	v_fma_f16 v67, v27, v21, -v68
	v_fma_f16 v68, v56, v21, v69
	v_fma_f16 v69, v57, v22, v71
	;; [unrolled: 1-line block ×3, first 2 shown]
	v_add_f16_e32 v27, v30, v32
	v_sub_f16_e32 v29, v62, v63
	v_fma_f16 v30, v28, -0.5, v30
	v_mul_f16_sdwa v51, v26, v15 dst_sel:DWORD dst_unused:UNUSED_PAD src0_sel:DWORD src1_sel:WORD_1
	v_mul_f16_sdwa v54, v13, v16 dst_sel:DWORD dst_unused:UNUSED_PAD src0_sel:DWORD src1_sel:WORD_1
	v_fma_f16 v73, v13, v16, -v53
	v_add_f16_e32 v13, v52, v62
	v_fma_f16 v28, v29, s4, v30
	v_fma_f16 v29, v29, s5, v30
	v_mul_f16_sdwa v30, v48, v15 dst_sel:DWORD dst_unused:UNUSED_PAD src0_sel:DWORD src1_sel:WORD_1
	v_fma_f16 v48, v48, v15, v51
	v_add_f16_e32 v51, v13, v63
	v_add_f16_e32 v13, v62, v63
	v_fma_f16 v26, v26, v15, -v30
	v_fma_f16 v13, v13, -0.5, v52
	v_sub_f16_e32 v30, v32, v34
	v_fma_f16 v52, v30, s5, v13
	v_fma_f16 v53, v30, s4, v13
	v_add_f16_e32 v13, v31, v33
	v_add_f16_e32 v30, v13, v35
	;; [unrolled: 1-line block ×3, first 2 shown]
	v_fma_f16 v13, v13, -0.5, v31
	v_sub_f16_e32 v32, v76, v64
	v_mul_f16_sdwa v74, v60, v24 dst_sel:DWORD dst_unused:UNUSED_PAD src0_sel:DWORD src1_sel:WORD_1
	v_fma_f16 v31, v32, s4, v13
	v_fma_f16 v32, v32, s5, v13
	v_add_f16_e32 v13, v55, v76
	v_mul_f16_sdwa v75, v39, v24 dst_sel:DWORD dst_unused:UNUSED_PAD src0_sel:DWORD src1_sel:WORD_1
	v_fma_f16 v39, v39, v24, -v74
	v_fma_f16 v74, v40, v16, v54
	v_add_f16_e32 v54, v13, v64
	v_add_f16_e32 v13, v76, v64
	v_fma_f16 v13, v13, -0.5, v55
	v_sub_f16_e32 v33, v33, v35
	v_fma_f16 v55, v33, s5, v13
	v_fma_f16 v56, v33, s4, v13
	v_add_f16_e32 v13, v36, v67
	v_add_f16_e32 v33, v13, v38
	;; [unrolled: 1-line block ×3, first 2 shown]
	v_fma_f16 v13, v13, -0.5, v36
	v_sub_f16_e32 v35, v68, v69
	v_add_f16_e32 v27, v27, v34
	v_fma_f16 v34, v35, s4, v13
	v_fma_f16 v35, v35, s5, v13
	v_add_f16_e32 v13, v58, v68
	v_add_f16_e32 v57, v13, v69
	;; [unrolled: 1-line block ×3, first 2 shown]
	v_fma_f16 v13, v13, -0.5, v58
	v_sub_f16_e32 v36, v67, v38
	v_fma_f16 v58, v36, s5, v13
	v_fma_f16 v59, v36, s4, v13
	v_add_f16_e32 v13, v37, v70
	v_fma_f16 v72, v60, v24, v75
	v_add_f16_e32 v36, v13, v39
	v_add_f16_e32 v13, v70, v39
	v_fma_f16 v13, v13, -0.5, v37
	v_sub_f16_e32 v38, v71, v72
	v_fma_f16 v37, v38, s4, v13
	v_fma_f16 v38, v38, s5, v13
	v_add_f16_e32 v13, v61, v71
	v_add_f16_e32 v60, v13, v72
	v_add_f16_e32 v13, v71, v72
	v_fma_f16 v13, v13, -0.5, v61
	v_sub_f16_e32 v39, v70, v39
	v_fma_f16 v61, v39, s5, v13
	v_fma_f16 v62, v39, s4, v13
	v_add_f16_e32 v13, v25, v26
	;; [unrolled: 7-line block ×3, first 2 shown]
	v_add_f16_e32 v48, v48, v74
	v_fma_f16 v48, v48, -0.5, v50
	v_sub_f16_e32 v26, v26, v73
	v_fma_f16 v63, v26, s5, v48
	v_fma_f16 v64, v26, s4, v48
	v_pack_b32_f16 v26, v27, v51
	v_pack_b32_f16 v67, v30, v54
	;; [unrolled: 1-line block ×3, first 2 shown]
	ds_write2_b32 v41, v26, v67 offset1:51
	v_pack_b32_f16 v26, v31, v55
	v_pack_b32_f16 v50, v29, v53
	ds_write2_b32 v65, v48, v26 offset0:93 offset1:144
	v_pack_b32_f16 v26, v32, v56
	ds_write2_b32 v49, v50, v26 offset0:186 offset1:237
	v_pack_b32_f16 v26, v33, v57
	v_pack_b32_f16 v65, v36, v60
	;; [unrolled: 1-line block ×3, first 2 shown]
	ds_write2_b32 v41, v26, v65 offset0:102 offset1:153
	v_pack_b32_f16 v26, v37, v61
	v_add_f16_e32 v25, v25, v74
	v_pack_b32_f16 v50, v35, v59
	ds_write2_b32 v49, v48, v26 offset0:67 offset1:118
	v_pack_b32_f16 v26, v38, v62
	ds_write2_b32 v66, v50, v26 offset0:32 offset1:83
	s_and_saveexec_b64 s[4:5], s[2:3]
	s_cbranch_execz .LBB0_11
; %bb.10:
	s_mov_b32 s14, 0x5040100
	v_perm_b32 v26, v25, v39, s14
	v_perm_b32 v48, v63, v40, s14
	v_add_u32_e32 v49, 0x300, v41
	ds_write2_b32 v49, v26, v48 offset0:12 offset1:233
	v_perm_b32 v26, v64, v13, s14
	ds_write_b32 v41, v26 offset:2584
.LBB0_11:
	s_or_b64 exec, exec, s[4:5]
	s_waitcnt lgkmcnt(0)
	; wave barrier
	s_waitcnt lgkmcnt(0)
	s_and_saveexec_b64 s[4:5], s[0:1]
	s_cbranch_execz .LBB0_13
; %bb.12:
	global_load_dword v26, v41, s[6:7] offset:2652
	s_add_u32 s14, s6, 0xa5c
	s_addc_u32 s15, s7, 0
	global_load_dword v50, v41, s[14:15] offset:156
	global_load_dword v73, v41, s[14:15] offset:312
	;; [unrolled: 1-line block ×10, first 2 shown]
	ds_read_b32 v48, v41
	global_load_dword v83, v41, s[14:15] offset:1716
	global_load_dword v84, v41, s[14:15] offset:1872
	;; [unrolled: 1-line block ×6, first 2 shown]
	v_add_u32_e32 v82, 0x400, v41
	s_waitcnt lgkmcnt(0)
	v_lshrrev_b32_e32 v49, 16, v48
	s_waitcnt vmcnt(16)
	v_mul_f16_sdwa v65, v49, v26 dst_sel:DWORD dst_unused:UNUSED_PAD src0_sel:DWORD src1_sel:WORD_1
	v_mul_f16_sdwa v66, v48, v26 dst_sel:DWORD dst_unused:UNUSED_PAD src0_sel:DWORD src1_sel:WORD_1
	v_fma_f16 v48, v48, v26, -v65
	v_fma_f16 v26, v49, v26, v66
	v_pack_b32_f16 v26, v48, v26
	ds_write_b32 v41, v26
	ds_read2_b32 v[48:49], v41 offset0:39 offset1:78
	ds_read2_b32 v[65:66], v41 offset0:117 offset1:156
	;; [unrolled: 1-line block ×5, first 2 shown]
	s_waitcnt lgkmcnt(4)
	v_lshrrev_b32_e32 v26, 16, v48
	s_waitcnt vmcnt(15)
	v_mul_f16_sdwa v89, v48, v50 dst_sel:DWORD dst_unused:UNUSED_PAD src0_sel:DWORD src1_sel:WORD_1
	v_lshrrev_b32_e32 v90, 16, v49
	s_waitcnt vmcnt(14)
	v_mul_f16_sdwa v91, v49, v73 dst_sel:DWORD dst_unused:UNUSED_PAD src0_sel:DWORD src1_sel:WORD_1
	s_waitcnt lgkmcnt(3)
	v_lshrrev_b32_e32 v92, 16, v65
	s_waitcnt vmcnt(13)
	v_mul_f16_sdwa v93, v65, v74 dst_sel:DWORD dst_unused:UNUSED_PAD src0_sel:DWORD src1_sel:WORD_1
	v_lshrrev_b32_e32 v94, 16, v66
	s_waitcnt vmcnt(12)
	v_mul_f16_sdwa v95, v66, v75 dst_sel:DWORD dst_unused:UNUSED_PAD src0_sel:DWORD src1_sel:WORD_1
	;; [unrolled: 7-line block ×3, first 2 shown]
	s_waitcnt lgkmcnt(1)
	v_lshrrev_b32_e32 v100, 16, v69
	s_waitcnt vmcnt(9)
	v_mul_f16_sdwa v101, v69, v78 dst_sel:DWORD dst_unused:UNUSED_PAD src0_sel:DWORD src1_sel:WORD_1
	v_lshrrev_b32_e32 v102, 16, v70
	v_mul_f16_sdwa v107, v26, v50 dst_sel:DWORD dst_unused:UNUSED_PAD src0_sel:DWORD src1_sel:WORD_1
	v_fma_f16 v26, v26, v50, v89
	v_mul_f16_sdwa v89, v90, v73 dst_sel:DWORD dst_unused:UNUSED_PAD src0_sel:DWORD src1_sel:WORD_1
	s_waitcnt vmcnt(8)
	v_mul_f16_sdwa v103, v70, v79 dst_sel:DWORD dst_unused:UNUSED_PAD src0_sel:DWORD src1_sel:WORD_1
	v_fma_f16 v90, v90, v73, v91
	v_mul_f16_sdwa v91, v92, v74 dst_sel:DWORD dst_unused:UNUSED_PAD src0_sel:DWORD src1_sel:WORD_1
	v_fma_f16 v92, v92, v74, v93
	;; [unrolled: 2-line block ×6, first 2 shown]
	v_mul_f16_sdwa v101, v102, v79 dst_sel:DWORD dst_unused:UNUSED_PAD src0_sel:DWORD src1_sel:WORD_1
	v_fma_f16 v48, v48, v50, -v107
	v_fma_f16 v49, v49, v73, -v89
	v_fma_f16 v102, v102, v79, v103
	v_fma_f16 v50, v65, v74, -v91
	v_fma_f16 v65, v66, v75, -v93
	;; [unrolled: 1-line block ×6, first 2 shown]
	v_pack_b32_f16 v26, v48, v26
	v_pack_b32_f16 v48, v49, v90
	;; [unrolled: 1-line block ×8, first 2 shown]
	ds_write2_b32 v41, v26, v48 offset0:39 offset1:78
	ds_write2_b32 v41, v49, v50 offset0:117 offset1:156
	;; [unrolled: 1-line block ×4, first 2 shown]
	ds_read2_b32 v[48:49], v82 offset0:173 offset1:212
	s_waitcnt lgkmcnt(5)
	v_lshrrev_b32_e32 v104, 16, v71
	s_waitcnt vmcnt(7)
	v_mul_f16_sdwa v105, v71, v80 dst_sel:DWORD dst_unused:UNUSED_PAD src0_sel:DWORD src1_sel:WORD_1
	v_lshrrev_b32_e32 v106, 16, v72
	v_mul_f16_sdwa v103, v104, v80 dst_sel:DWORD dst_unused:UNUSED_PAD src0_sel:DWORD src1_sel:WORD_1
	v_fma_f16 v104, v104, v80, v105
	s_waitcnt vmcnt(6)
	v_mul_f16_sdwa v105, v106, v81 dst_sel:DWORD dst_unused:UNUSED_PAD src0_sel:DWORD src1_sel:WORD_1
	v_mul_f16_sdwa v26, v72, v81 dst_sel:DWORD dst_unused:UNUSED_PAD src0_sel:DWORD src1_sel:WORD_1
	v_fma_f16 v70, v71, v80, -v103
	v_fma_f16 v71, v72, v81, -v105
	v_fma_f16 v26, v106, v81, v26
	v_pack_b32_f16 v69, v70, v104
	v_pack_b32_f16 v26, v71, v26
	ds_write2_b32 v82, v69, v26 offset0:95 offset1:134
	s_waitcnt lgkmcnt(1)
	v_lshrrev_b32_e32 v26, 16, v48
	s_waitcnt vmcnt(5)
	v_mul_f16_sdwa v50, v26, v83 dst_sel:DWORD dst_unused:UNUSED_PAD src0_sel:DWORD src1_sel:WORD_1
	v_fma_f16 v50, v48, v83, -v50
	v_mul_f16_sdwa v48, v48, v83 dst_sel:DWORD dst_unused:UNUSED_PAD src0_sel:DWORD src1_sel:WORD_1
	v_add_u32_e32 v67, 0x600, v41
	v_fma_f16 v26, v26, v83, v48
	v_lshrrev_b32_e32 v48, 16, v49
	ds_read2_b32 v[65:66], v67 offset0:123 offset1:162
	v_pack_b32_f16 v26, v50, v26
	s_waitcnt vmcnt(4)
	v_mul_f16_sdwa v50, v48, v84 dst_sel:DWORD dst_unused:UNUSED_PAD src0_sel:DWORD src1_sel:WORD_1
	v_fma_f16 v50, v49, v84, -v50
	v_mul_f16_sdwa v49, v49, v84 dst_sel:DWORD dst_unused:UNUSED_PAD src0_sel:DWORD src1_sel:WORD_1
	v_fma_f16 v48, v48, v84, v49
	v_pack_b32_f16 v48, v50, v48
	ds_write2_b32 v82, v26, v48 offset0:173 offset1:212
	s_waitcnt lgkmcnt(1)
	v_lshrrev_b32_e32 v26, 16, v65
	s_waitcnt vmcnt(3)
	v_mul_f16_sdwa v48, v26, v85 dst_sel:DWORD dst_unused:UNUSED_PAD src0_sel:DWORD src1_sel:WORD_1
	v_mul_f16_sdwa v49, v65, v85 dst_sel:DWORD dst_unused:UNUSED_PAD src0_sel:DWORD src1_sel:WORD_1
	v_fma_f16 v48, v65, v85, -v48
	v_fma_f16 v26, v26, v85, v49
	v_lshrrev_b32_e32 v50, 16, v66
	v_pack_b32_f16 v26, v48, v26
	s_waitcnt vmcnt(2)
	v_mul_f16_sdwa v48, v50, v86 dst_sel:DWORD dst_unused:UNUSED_PAD src0_sel:DWORD src1_sel:WORD_1
	v_add_u32_e32 v68, 0x800, v41
	v_fma_f16 v65, v66, v86, -v48
	ds_read2_b32 v[48:49], v68 offset0:73 offset1:112
	v_mul_f16_sdwa v66, v66, v86 dst_sel:DWORD dst_unused:UNUSED_PAD src0_sel:DWORD src1_sel:WORD_1
	v_fma_f16 v50, v50, v86, v66
	v_pack_b32_f16 v50, v65, v50
	ds_write2_b32 v67, v26, v50 offset0:123 offset1:162
	s_waitcnt lgkmcnt(1)
	v_lshrrev_b32_e32 v26, 16, v48
	s_waitcnt vmcnt(1)
	v_mul_f16_sdwa v50, v26, v87 dst_sel:DWORD dst_unused:UNUSED_PAD src0_sel:DWORD src1_sel:WORD_1
	v_fma_f16 v50, v48, v87, -v50
	v_mul_f16_sdwa v48, v48, v87 dst_sel:DWORD dst_unused:UNUSED_PAD src0_sel:DWORD src1_sel:WORD_1
	v_fma_f16 v26, v26, v87, v48
	v_lshrrev_b32_e32 v48, 16, v49
	v_pack_b32_f16 v26, v50, v26
	s_waitcnt vmcnt(0)
	v_mul_f16_sdwa v50, v48, v88 dst_sel:DWORD dst_unused:UNUSED_PAD src0_sel:DWORD src1_sel:WORD_1
	v_fma_f16 v50, v49, v88, -v50
	v_mul_f16_sdwa v49, v49, v88 dst_sel:DWORD dst_unused:UNUSED_PAD src0_sel:DWORD src1_sel:WORD_1
	v_fma_f16 v48, v48, v88, v49
	v_pack_b32_f16 v48, v50, v48
	ds_write2_b32 v68, v26, v48 offset0:73 offset1:112
.LBB0_13:
	s_or_b64 exec, exec, s[4:5]
	s_waitcnt lgkmcnt(0)
	; wave barrier
	s_waitcnt lgkmcnt(0)
	s_and_saveexec_b64 s[4:5], s[0:1]
	s_cbranch_execz .LBB0_15
; %bb.14:
	v_add_u32_e32 v13, 0x200, v41
	ds_read2_b32 v[27:28], v41 offset1:39
	ds_read2_b32 v[29:30], v41 offset0:78 offset1:117
	ds_read2_b32 v[31:32], v41 offset0:156 offset1:195
	;; [unrolled: 1-line block ×3, first 2 shown]
	v_add_u32_e32 v13, 0x400, v41
	ds_read2_b32 v[35:36], v13 offset0:56 offset1:95
	ds_read2_b32 v[37:38], v13 offset0:134 offset1:173
	;; [unrolled: 1-line block ×3, first 2 shown]
	v_add_u32_e32 v13, 0x800, v41
	ds_read2_b32 v[13:14], v13 offset0:34 offset1:73
	ds_read_b32 v44, v41 offset:2496
	s_waitcnt lgkmcnt(8)
	v_lshrrev_b32_e32 v51, 16, v27
	v_lshrrev_b32_e32 v52, 16, v28
	s_waitcnt lgkmcnt(7)
	v_lshrrev_b32_e32 v53, 16, v29
	v_lshrrev_b32_e32 v54, 16, v30
	;; [unrolled: 3-line block ×8, first 2 shown]
	s_waitcnt lgkmcnt(0)
	v_lshrrev_b32_e32 v46, 16, v44
.LBB0_15:
	s_or_b64 exec, exec, s[4:5]
	v_sub_f16_e32 v83, v52, v46
	v_add_f16_e32 v65, v44, v28
	v_add_f16_e32 v86, v46, v52
	s_movk_i32 s14, 0x3722
	v_mul_f16_e32 v95, 0xbb29, v83
	v_sub_f16_e32 v85, v53, v45
	v_sub_f16_e32 v66, v28, v44
	s_mov_b32 s17, 0xbb29
	v_mul_f16_e32 v98, 0x3722, v86
	v_fma_f16 v26, v65, s14, -v95
	v_add_f16_e32 v67, v14, v29
	v_add_f16_e32 v88, v45, v53
	s_mov_b32 s16, 0xb8d2
	v_mul_f16_e32 v99, 0xba62, v85
	v_add_f16_e32 v26, v27, v26
	v_fma_f16 v48, v66, s17, v98
	s_movk_i32 s15, 0x2de8
	v_mul_f16_e32 v104, 0xbbf7, v83
	v_sub_f16_e32 v68, v29, v14
	s_mov_b32 s20, 0xba62
	v_mul_f16_e32 v102, 0xb8d2, v88
	v_fma_f16 v69, v67, s16, -v99
	v_add_f16_e32 v48, v51, v48
	s_mov_b32 s19, 0xbbf7
	v_mul_f16_e32 v108, 0x2de8, v86
	v_fma_f16 v49, v65, s15, -v104
	v_add_f16_e32 v26, v69, v26
	v_fma_f16 v69, v68, s20, v102
	s_mov_b32 s18, 0xbbdd
	v_mul_f16_e32 v109, 0xb1e1, v85
	v_add_f16_e32 v49, v27, v49
	v_fma_f16 v50, v66, s19, v108
	v_add_f16_e32 v48, v69, v48
	s_mov_b32 s21, 0xb1e1
	v_mul_f16_e32 v112, 0xbbdd, v88
	v_fma_f16 v69, v67, s18, -v109
	v_add_f16_e32 v50, v51, v50
	v_add_f16_e32 v49, v69, v49
	v_fma_f16 v69, v68, s21, v112
	v_sub_f16_e32 v87, v54, v64
	v_add_f16_e32 v50, v69, v50
	v_add_f16_e32 v69, v13, v30
	;; [unrolled: 1-line block ×3, first 2 shown]
	v_mul_f16_e32 v103, 0x31e1, v87
	v_sub_f16_e32 v71, v30, v13
	s_movk_i32 s37, 0x31e1
	v_mul_f16_e32 v107, 0xbbdd, v90
	v_fma_f16 v70, v69, s18, -v103
	v_add_f16_e32 v26, v70, v26
	v_fma_f16 v70, v71, s37, v107
	s_mov_b32 s22, 0xb461
	v_mul_f16_e32 v113, 0x3bb2, v87
	v_add_f16_e32 v48, v70, v48
	s_movk_i32 s25, 0x3bb2
	v_mul_f16_e32 v117, 0xb461, v90
	v_fma_f16 v70, v69, s22, -v113
	v_add_f16_e32 v49, v70, v49
	v_fma_f16 v70, v71, s25, v117
	v_sub_f16_e32 v89, v55, v63
	v_add_f16_e32 v50, v70, v50
	v_add_f16_e32 v70, v40, v31
	;; [unrolled: 1-line block ×3, first 2 shown]
	v_mul_f16_e32 v106, 0x3bb2, v89
	v_sub_f16_e32 v73, v31, v40
	v_mul_f16_e32 v110, 0xb461, v92
	v_fma_f16 v72, v70, s22, -v106
	v_add_f16_e32 v26, v72, v26
	v_fma_f16 v72, v73, s25, v110
	s_movk_i32 s23, 0x3b76
	v_mul_f16_e32 v116, 0x35c8, v89
	v_add_f16_e32 v48, v72, v48
	s_movk_i32 s27, 0x35c8
	v_mul_f16_e32 v121, 0x3b76, v92
	v_fma_f16 v72, v70, s23, -v116
	v_add_f16_e32 v49, v72, v49
	v_fma_f16 v72, v73, s27, v121
	v_sub_f16_e32 v91, v56, v25
	v_add_f16_e32 v50, v72, v50
	v_add_f16_e32 v72, v39, v32
	;; [unrolled: 1-line block ×3, first 2 shown]
	s_movk_i32 s24, 0x39e9
	v_mul_f16_e32 v111, 0x3964, v91
	v_sub_f16_e32 v75, v32, v39
	s_movk_i32 s30, 0x3964
	v_mul_f16_e32 v115, 0x39e9, v94
	v_fma_f16 v74, v72, s24, -v111
	v_add_f16_e32 v26, v74, v26
	v_fma_f16 v74, v75, s30, v115
	v_mul_f16_e32 v120, 0xbb29, v91
	v_add_f16_e32 v48, v74, v48
	v_mul_f16_e32 v124, 0x3722, v94
	v_fma_f16 v74, v72, s14, -v120
	v_add_f16_e32 v49, v74, v49
	v_fma_f16 v74, v75, s17, v124
	v_sub_f16_e32 v93, v57, v62
	v_add_f16_e32 v50, v74, v50
	v_add_f16_e32 v74, v38, v33
	;; [unrolled: 1-line block ×3, first 2 shown]
	v_mul_f16_e32 v114, 0xb5c8, v93
	v_sub_f16_e32 v77, v33, v38
	s_mov_b32 s29, 0xb5c8
	v_mul_f16_e32 v119, 0x3b76, v97
	v_fma_f16 v76, v74, s23, -v114
	v_add_f16_e32 v26, v76, v26
	v_fma_f16 v76, v77, s29, v119
	s_mov_b32 s26, 0xbacd
	v_mul_f16_e32 v125, 0xb836, v93
	v_add_f16_e32 v48, v76, v48
	s_mov_b32 s28, 0xb836
	v_mul_f16_e32 v128, 0xbacd, v97
	v_fma_f16 v76, v74, s26, -v125
	v_add_f16_e32 v49, v76, v49
	v_fma_f16 v76, v77, s28, v128
	v_sub_f16_e32 v96, v58, v61
	v_add_f16_e32 v50, v76, v50
	v_add_f16_e32 v76, v37, v34
	;; [unrolled: 1-line block ×3, first 2 shown]
	v_mul_f16_e32 v118, 0xbbf7, v96
	v_sub_f16_e32 v79, v34, v37
	v_mul_f16_e32 v123, 0x2de8, v101
	v_fma_f16 v78, v76, s15, -v118
	v_add_f16_e32 v26, v78, v26
	v_fma_f16 v78, v79, s19, v123
	v_mul_f16_e32 v127, 0x3a62, v96
	v_add_f16_e32 v81, v78, v48
	s_movk_i32 s35, 0x3a62
	v_mul_f16_e32 v130, 0xb8d2, v101
	v_fma_f16 v48, v76, s16, -v127
	v_sub_f16_e32 v100, v59, v60
	v_add_f16_e32 v82, v48, v49
	v_fma_f16 v48, v79, s35, v130
	v_add_f16_e32 v78, v36, v35
	v_add_f16_e32 v105, v60, v59
	v_mul_f16_e32 v122, 0xb836, v100
	v_add_f16_e32 v50, v48, v50
	v_sub_f16_e32 v80, v35, v36
	v_mul_f16_e32 v126, 0xbacd, v105
	v_fma_f16 v48, v78, s26, -v122
	v_add_f16_e32 v48, v48, v26
	v_fma_f16 v26, v80, s28, v126
	v_mul_f16_e32 v129, 0x3964, v100
	v_mul_f16_e32 v131, 0x39e9, v105
	v_add_f16_e32 v49, v26, v81
	v_fma_f16 v26, v78, s24, -v129
	v_fma_f16 v81, v80, s30, v131
	v_add_f16_e32 v26, v26, v82
	v_add_f16_e32 v50, v81, v50
	s_waitcnt lgkmcnt(0)
	; wave barrier
	s_and_saveexec_b64 s[4:5], s[0:1]
	s_cbranch_execz .LBB0_17
; %bb.16:
	v_mul_f16_e32 v164, 0xbbdd, v86
	v_fma_f16 v81, v66, s37, v164
	v_mul_f16_e32 v165, 0x3b76, v88
	v_add_f16_e32 v81, v51, v81
	v_fma_f16 v82, v68, s29, v165
	v_mul_f16_e32 v166, 0xbacd, v90
	v_add_f16_e32 v81, v82, v81
	v_fma_f16 v82, v71, s33, v166
	v_mul_f16_e32 v167, 0x39e9, v92
	s_mov_b32 s31, 0xb964
	v_add_f16_e32 v81, v82, v81
	v_fma_f16 v82, v73, s31, v167
	v_mul_f16_e32 v168, 0xb8d2, v94
	v_add_f16_e32 v81, v82, v81
	v_fma_f16 v82, v75, s35, v168
	v_mul_f16_e32 v169, 0x3722, v97
	;; [unrolled: 3-line block ×14, first 2 shown]
	v_add_f16_e32 v28, v28, v27
	v_add_f16_e32 v84, v51, v84
	v_fma_f16 v182, v68, s17, v181
	v_add_f16_e32 v28, v29, v28
	s_movk_i32 s38, 0x3bf7
	v_add_f16_e32 v84, v182, v84
	v_mul_f16_e32 v182, 0x2de8, v90
	v_add_f16_e32 v28, v30, v28
	v_fma_f16 v183, v71, s38, v182
	v_add_f16_e32 v28, v31, v28
	v_add_f16_e32 v84, v183, v84
	v_mul_f16_e32 v183, 0xb8d2, v92
	v_add_f16_e32 v28, v32, v28
	v_fma_f16 v184, v73, s20, v183
	v_add_f16_e32 v28, v33, v28
	;; [unrolled: 5-line block ×6, first 2 shown]
	v_add_f16_e32 v84, v188, v84
	v_mul_f16_e32 v188, 0xb836, v83
	v_add_f16_e32 v13, v14, v13
	v_add_f16_e32 v14, v52, v51
	v_fma_f16 v189, v65, s26, v188
	v_mul_f16_e32 v190, 0x3b29, v85
	v_add_f16_e32 v14, v53, v14
	v_add_f16_e32 v189, v27, v189
	v_fma_f16 v191, v67, s14, v190
	v_add_f16_e32 v14, v54, v14
	v_add_f16_e32 v189, v191, v189
	v_mul_f16_e32 v191, 0xbbf7, v87
	v_add_f16_e32 v14, v55, v14
	v_fma_f16 v192, v69, s15, v191
	v_add_f16_e32 v14, v56, v14
	v_add_f16_e32 v189, v192, v189
	v_mul_f16_e32 v192, 0x3a62, v89
	;; [unrolled: 5-line block ×5, first 2 shown]
	v_add_f16_e32 v14, v25, v14
	v_fma_f16 v25, v66, s21, v164
	v_fma_f16 v196, v76, s24, v195
	v_add_f16_e32 v25, v51, v25
	v_fma_f16 v28, v68, s27, v165
	v_add_f16_e32 v189, v196, v189
	v_mul_f16_e32 v196, 0xbbb2, v100
	v_add_f16_e32 v25, v28, v25
	v_fma_f16 v28, v71, s28, v166
	v_fma_f16 v197, v78, s22, v196
	v_add_f16_e32 v25, v28, v25
	v_fma_f16 v28, v73, s30, v167
	s_movk_i32 s36, 0x3b29
	v_add_f16_e32 v189, v197, v189
	v_mul_f16_e32 v197, 0xb8d2, v86
	v_add_f16_e32 v25, v28, v25
	v_fma_f16 v28, v75, s20, v168
	s_mov_b32 s34, 0xbbb2
	v_fma_f16 v198, v66, s35, v197
	v_mul_f16_e32 v199, 0xb461, v88
	v_add_f16_e32 v25, v28, v25
	v_fma_f16 v28, v77, s36, v169
	v_add_f16_e32 v198, v51, v198
	v_fma_f16 v200, v68, s34, v199
	;; [unrolled: 2-line block ×3, first 2 shown]
	v_add_f16_e32 v198, v200, v198
	v_mul_f16_e32 v200, 0x3b76, v90
	v_add_f16_e32 v25, v28, v25
	v_fma_f16 v28, v80, s38, v171
	v_fma_f16 v201, v71, s27, v200
	v_add_f16_e32 v25, v28, v25
	v_fma_f16 v28, v65, s18, -v172
	v_add_f16_e32 v198, v201, v198
	v_mul_f16_e32 v201, 0xbacd, v92
	v_add_f16_e32 v28, v27, v28
	v_fma_f16 v29, v67, s23, -v173
	v_fma_f16 v202, v73, s33, v201
	v_add_f16_e32 v28, v29, v28
	v_fma_f16 v29, v69, s26, -v174
	v_add_f16_e32 v198, v202, v198
	v_mul_f16_e32 v202, 0x2de8, v94
	v_add_f16_e32 v28, v29, v28
	v_fma_f16 v29, v70, s24, -v175
	;; [unrolled: 7-line block ×4, first 2 shown]
	v_fma_f16 v205, v79, s37, v204
	v_add_f16_e32 v28, v29, v28
	v_fma_f16 v29, v66, s28, v180
	v_add_f16_e32 v198, v205, v198
	v_mul_f16_e32 v205, 0x3722, v105
	v_add_f16_e32 v29, v51, v29
	v_fma_f16 v30, v68, s36, v181
	v_fma_f16 v206, v80, s17, v205
	v_add_f16_e32 v29, v30, v29
	v_fma_f16 v30, v71, s19, v182
	v_add_f16_e32 v198, v206, v198
	v_mul_f16_e32 v206, 0xba62, v83
	v_add_f16_e32 v29, v30, v29
	v_fma_f16 v30, v73, s35, v183
	v_fma_f16 v207, v65, s16, v206
	v_mul_f16_e32 v208, 0x3bb2, v85
	v_add_f16_e32 v29, v30, v29
	v_fma_f16 v30, v75, s29, v184
	v_add_f16_e32 v207, v27, v207
	v_fma_f16 v209, v67, s22, v208
	;; [unrolled: 2-line block ×3, first 2 shown]
	v_add_f16_e32 v207, v209, v207
	v_mul_f16_e32 v209, 0xb5c8, v87
	v_add_f16_e32 v29, v30, v29
	v_fma_f16 v30, v79, s30, v186
	v_fma_f16 v210, v69, s23, v209
	v_add_f16_e32 v29, v30, v29
	v_fma_f16 v30, v80, s34, v187
	v_add_f16_e32 v207, v210, v207
	v_mul_f16_e32 v210, 0xb836, v89
	v_add_f16_e32 v29, v30, v29
	v_fma_f16 v30, v65, s26, -v188
	v_fma_f16 v211, v70, s26, v210
	v_add_f16_e32 v30, v27, v30
	v_fma_f16 v31, v67, s14, -v190
	v_add_f16_e32 v207, v211, v207
	v_mul_f16_e32 v211, 0x3bf7, v91
	v_add_f16_e32 v30, v31, v30
	v_fma_f16 v31, v69, s15, -v191
	v_fma_f16 v212, v72, s15, v211
	v_add_f16_e32 v30, v31, v30
	v_fma_f16 v31, v70, s16, -v192
	;; [unrolled: 7-line block ×4, first 2 shown]
	v_add_f16_e32 v207, v214, v207
	v_mul_f16_e32 v214, 0x3b29, v100
	v_add_f16_e32 v30, v31, v30
	v_fma_f16 v31, v66, s20, v197
	v_fma_f16 v215, v78, s14, v214
	v_add_f16_e32 v31, v51, v31
	v_fma_f16 v32, v68, s25, v199
	v_add_f16_e32 v207, v215, v207
	v_mul_f16_e32 v215, 0xb461, v86
	v_add_f16_e32 v31, v32, v31
	v_fma_f16 v32, v71, s29, v200
	v_fma_f16 v216, v66, s25, v215
	v_mul_f16_e32 v217, 0xbacd, v88
	v_add_f16_e32 v31, v32, v31
	v_fma_f16 v32, v73, s28, v201
	v_add_f16_e32 v216, v51, v216
	v_fma_f16 v218, v68, s28, v217
	;; [unrolled: 2-line block ×3, first 2 shown]
	v_add_f16_e32 v216, v218, v216
	v_mul_f16_e32 v218, 0x39e9, v90
	v_add_f16_e32 v31, v32, v31
	v_fma_f16 v32, v77, s31, v203
	v_fma_f16 v219, v71, s31, v218
	v_add_f16_e32 v31, v32, v31
	v_fma_f16 v32, v79, s21, v204
	v_add_f16_e32 v216, v219, v216
	v_mul_f16_e32 v219, 0x3722, v92
	v_add_f16_e32 v31, v32, v31
	v_fma_f16 v32, v80, s36, v205
	v_mul_f16_e32 v132, 0x3722, v65
	v_fma_f16 v220, v73, s36, v219
	v_add_f16_e32 v31, v32, v31
	v_fma_f16 v32, v65, s16, -v206
	v_mul_f16_e32 v133, 0xbb29, v66
	v_mul_f16_e32 v136, 0xb8d2, v67
	v_add_f16_e32 v216, v220, v216
	v_mul_f16_e32 v220, 0xbbdd, v94
	v_add_f16_e32 v95, v132, v95
	v_add_f16_e32 v32, v27, v32
	v_fma_f16 v33, v67, s22, -v208
	v_mul_f16_e32 v137, 0xba62, v68
	v_mul_f16_e32 v140, 0xbbdd, v69
	v_fma_f16 v221, v75, s37, v220
	v_sub_f16_e32 v98, v98, v133
	v_add_f16_e32 v95, v27, v95
	v_add_f16_e32 v99, v136, v99
	v_add_f16_e32 v32, v33, v32
	v_fma_f16 v33, v69, s23, -v209
	v_mul_f16_e32 v141, 0x31e1, v71
	v_mul_f16_e32 v144, 0xb461, v70
	v_add_f16_e32 v216, v221, v216
	v_mul_f16_e32 v221, 0x2de8, v97
	v_add_f16_e32 v98, v51, v98
	v_sub_f16_e32 v102, v102, v137
	v_add_f16_e32 v95, v99, v95
	v_add_f16_e32 v99, v140, v103
	v_add_f16_e32 v32, v33, v32
	v_fma_f16 v33, v70, s26, -v210
	v_mul_f16_e32 v145, 0x3bb2, v73
	v_mul_f16_e32 v148, 0x39e9, v72
	v_fma_f16 v222, v77, s19, v221
	v_add_f16_e32 v98, v102, v98
	v_sub_f16_e32 v102, v107, v141
	v_add_f16_e32 v95, v99, v95
	v_add_f16_e32 v99, v144, v106
	;; [unrolled: 1-line block ×3, first 2 shown]
	v_fma_f16 v33, v72, s15, -v211
	v_mul_f16_e32 v149, 0x3964, v75
	v_mul_f16_e32 v152, 0x3b76, v74
	v_add_f16_e32 v216, v222, v216
	v_mul_f16_e32 v222, 0x3b76, v101
	v_add_f16_e32 v98, v102, v98
	v_sub_f16_e32 v102, v110, v145
	v_add_f16_e32 v95, v99, v95
	v_add_f16_e32 v99, v148, v111
	v_add_f16_e32 v32, v33, v32
	v_fma_f16 v33, v74, s24, -v212
	v_mul_f16_e32 v134, 0x2de8, v65
	v_mul_f16_e32 v153, 0xb5c8, v77
	;; [unrolled: 1-line block ×3, first 2 shown]
	v_fma_f16 v223, v79, s27, v222
	v_add_f16_e32 v98, v102, v98
	v_sub_f16_e32 v102, v115, v149
	v_add_f16_e32 v95, v99, v95
	v_add_f16_e32 v99, v152, v114
	;; [unrolled: 1-line block ×3, first 2 shown]
	v_fma_f16 v33, v76, s18, -v213
	v_mul_f16_e32 v138, 0xbbdd, v67
	v_mul_f16_e32 v157, 0xbbf7, v79
	;; [unrolled: 1-line block ×3, first 2 shown]
	v_add_f16_e32 v216, v223, v216
	v_mul_f16_e32 v223, 0xb8d2, v105
	v_add_f16_e32 v104, v134, v104
	v_add_f16_e32 v98, v102, v98
	v_sub_f16_e32 v102, v119, v153
	v_add_f16_e32 v95, v99, v95
	v_add_f16_e32 v99, v156, v118
	;; [unrolled: 1-line block ×3, first 2 shown]
	v_fma_f16 v33, v78, s14, -v214
	v_mul_f16_e32 v142, 0xb461, v69
	v_mul_f16_e32 v161, 0xb836, v80
	v_fma_f16 v224, v80, s35, v223
	v_add_f16_e32 v104, v27, v104
	v_add_f16_e32 v109, v138, v109
	;; [unrolled: 1-line block ×3, first 2 shown]
	v_sub_f16_e32 v102, v123, v157
	v_add_f16_e32 v95, v99, v95
	v_add_f16_e32 v99, v160, v122
	;; [unrolled: 1-line block ×3, first 2 shown]
	v_fma_f16 v33, v66, s34, v215
	v_mul_f16_e32 v146, 0x3b76, v70
	v_add_f16_e32 v216, v224, v216
	v_mul_f16_e32 v224, 0xbbb2, v83
	v_add_f16_e32 v104, v109, v104
	v_add_f16_e32 v109, v142, v113
	;; [unrolled: 1-line block ×3, first 2 shown]
	v_sub_f16_e32 v102, v126, v161
	v_add_f16_e32 v95, v99, v95
	v_mul_f16_e32 v99, 0x39e9, v86
	v_add_f16_e32 v33, v51, v33
	v_fma_f16 v34, v68, s33, v217
	v_mul_f16_e32 v150, 0x3722, v72
	v_fma_f16 v225, v65, s22, v224
	v_mul_f16_e32 v226, 0x3836, v85
	v_add_f16_e32 v104, v109, v104
	v_add_f16_e32 v109, v146, v116
	;; [unrolled: 1-line block ×3, first 2 shown]
	v_fma_f16 v102, v66, s30, v99
	v_mul_f16_e32 v103, 0x2de8, v88
	v_add_f16_e32 v33, v34, v33
	v_fma_f16 v34, v71, s30, v218
	v_mul_f16_e32 v154, 0xbacd, v74
	v_add_f16_e32 v225, v27, v225
	v_fma_f16 v227, v67, s26, v226
	v_add_f16_e32 v104, v109, v104
	v_add_f16_e32 v109, v150, v120
	;; [unrolled: 1-line block ×3, first 2 shown]
	v_fma_f16 v106, v68, s38, v103
	v_add_f16_e32 v33, v34, v33
	v_fma_f16 v34, v73, s17, v219
	v_mul_f16_e32 v135, 0xbbf7, v66
	v_mul_f16_e32 v158, 0xb8d2, v76
	v_add_f16_e32 v225, v227, v225
	v_mul_f16_e32 v227, 0x3964, v87
	v_add_f16_e32 v104, v109, v104
	v_add_f16_e32 v109, v154, v125
	v_add_f16_e32 v102, v106, v102
	v_mul_f16_e32 v106, 0xb8d2, v90
	v_add_f16_e32 v33, v34, v33
	v_fma_f16 v34, v75, s21, v220
	v_mul_f16_e32 v139, 0xb1e1, v68
	v_mul_f16_e32 v162, 0x39e9, v78
	v_fma_f16 v228, v69, s24, v227
	v_sub_f16_e32 v108, v108, v135
	v_add_f16_e32 v104, v109, v104
	v_add_f16_e32 v109, v158, v127
	v_fma_f16 v107, v71, s35, v106
	v_add_f16_e32 v33, v34, v33
	v_fma_f16 v34, v77, s38, v221
	v_mul_f16_e32 v143, 0x3bb2, v71
	v_add_f16_e32 v225, v228, v225
	v_mul_f16_e32 v228, 0xbb29, v89
	v_add_f16_e32 v108, v51, v108
	v_sub_f16_e32 v112, v112, v139
	v_add_f16_e32 v104, v109, v104
	v_add_f16_e32 v109, v162, v129
	;; [unrolled: 1-line block ×3, first 2 shown]
	v_mul_f16_e32 v107, 0xbbdd, v92
	v_add_f16_e32 v33, v34, v33
	v_fma_f16 v34, v79, s29, v222
	v_mul_f16_e32 v147, 0x35c8, v73
	v_fma_f16 v229, v70, s14, v228
	v_add_f16_e32 v108, v112, v108
	v_sub_f16_e32 v112, v117, v143
	v_add_f16_e32 v104, v109, v104
	v_fma_f16 v109, v73, s37, v107
	v_add_f16_e32 v33, v34, v33
	v_fma_f16 v34, v80, s20, v223
	v_mul_f16_e32 v151, 0xbb29, v75
	v_add_f16_e32 v225, v229, v225
	v_mul_f16_e32 v229, 0xb1e1, v91
	v_add_f16_e32 v108, v112, v108
	v_sub_f16_e32 v112, v121, v147
	v_add_f16_e32 v102, v109, v102
	v_mul_f16_e32 v109, 0xbacd, v94
	v_add_f16_e32 v33, v34, v33
	v_fma_f16 v34, v65, s22, -v224
	v_mul_f16_e32 v155, 0xb836, v77
	v_fma_f16 v230, v72, s18, v229
	v_add_f16_e32 v108, v112, v108
	v_sub_f16_e32 v112, v124, v151
	v_fma_f16 v110, v75, s28, v109
	v_add_f16_e32 v34, v27, v34
	v_fma_f16 v35, v67, s26, -v226
	v_mul_f16_e32 v159, 0x3a62, v79
	v_add_f16_e32 v225, v230, v225
	v_mul_f16_e32 v230, 0x3bf7, v93
	v_add_f16_e32 v108, v112, v108
	v_sub_f16_e32 v112, v128, v155
	v_add_f16_e32 v102, v110, v102
	v_mul_f16_e32 v110, 0xb461, v97
	v_add_f16_e32 v34, v35, v34
	v_fma_f16 v35, v69, s24, -v227
	v_mul_f16_e32 v163, 0x3964, v80
	v_fma_f16 v231, v74, s15, v230
	v_add_f16_e32 v108, v112, v108
	v_sub_f16_e32 v112, v130, v159
	v_fma_f16 v111, v77, s34, v110
	v_add_f16_e32 v34, v35, v34
	v_fma_f16 v35, v70, s14, -v228
	v_add_f16_e32 v225, v231, v225
	v_mul_f16_e32 v231, 0xb5c8, v96
	v_add_f16_e32 v108, v112, v108
	v_sub_f16_e32 v112, v131, v163
	v_add_f16_e32 v102, v111, v102
	v_mul_f16_e32 v111, 0x3722, v101
	v_add_f16_e32 v34, v35, v34
	v_fma_f16 v35, v72, s18, -v229
	v_fma_f16 v232, v76, s23, v231
	v_add_f16_e32 v108, v112, v108
	v_fma_f16 v112, v79, s17, v111
	v_add_f16_e32 v34, v35, v34
	v_fma_f16 v35, v74, s15, -v230
	v_add_f16_e32 v225, v232, v225
	v_mul_f16_e32 v232, 0xba62, v100
	v_add_f16_e32 v102, v112, v102
	v_mul_f16_e32 v112, 0x3b76, v105
	v_add_f16_e32 v34, v35, v34
	v_fma_f16 v35, v76, s23, -v231
	v_fma_f16 v113, v80, s29, v112
	v_add_f16_e32 v34, v35, v34
	v_fma_f16 v35, v78, s16, -v232
	v_add_f16_e32 v102, v113, v102
	v_mul_f16_e32 v113, 0xb964, v83
	v_add_f16_e32 v34, v35, v34
	v_fma_f16 v35, v66, s31, v99
	v_fma_f16 v114, v65, s24, v113
	v_mul_f16_e32 v115, 0xbbf7, v85
	v_add_f16_e32 v35, v51, v35
	v_fma_f16 v36, v68, s19, v103
	v_add_f16_e32 v114, v27, v114
	v_fma_f16 v116, v67, s15, v115
	;; [unrolled: 2-line block ×3, first 2 shown]
	v_add_f16_e32 v114, v116, v114
	v_mul_f16_e32 v116, 0xba62, v87
	v_add_f16_e32 v35, v36, v35
	v_fma_f16 v36, v73, s21, v107
	v_fma_f16 v117, v69, s16, v116
	v_add_f16_e32 v35, v36, v35
	v_fma_f16 v36, v75, s33, v109
	v_add_f16_e32 v114, v117, v114
	v_mul_f16_e32 v117, 0xb1e1, v89
	v_add_f16_e32 v35, v36, v35
	v_fma_f16 v36, v77, s25, v110
	v_fma_f16 v118, v70, s18, v117
	v_add_f16_e32 v35, v36, v35
	v_fma_f16 v36, v79, s36, v111
	v_add_f16_e32 v114, v118, v114
	v_mul_f16_e32 v118, 0x3836, v91
	v_add_f16_e32 v35, v36, v35
	v_fma_f16 v36, v80, s27, v112
	v_fma_f16 v119, v72, s26, v118
	v_add_f16_e32 v35, v36, v35
	v_fma_f16 v36, v65, s24, -v113
	v_add_f16_e32 v114, v119, v114
	v_mul_f16_e32 v119, 0x3bb2, v93
	v_add_f16_e32 v36, v27, v36
	v_fma_f16 v37, v67, s15, -v115
	v_fma_f16 v120, v74, s22, v119
	v_add_f16_e32 v36, v37, v36
	v_fma_f16 v37, v69, s16, -v116
	v_add_f16_e32 v114, v120, v114
	v_mul_f16_e32 v120, 0x3b29, v96
	v_add_f16_e32 v36, v37, v36
	v_fma_f16 v37, v70, s18, -v117
	;; [unrolled: 7-line block ×3, first 2 shown]
	v_fma_f16 v122, v78, s23, v121
	v_mul_f16_e32 v86, 0x3b76, v86
	v_add_f16_e32 v36, v37, v36
	v_fma_f16 v37, v76, s14, -v120
	v_add_f16_e32 v114, v122, v114
	v_fma_f16 v122, v66, s27, v86
	v_mul_f16_e32 v88, 0x39e9, v88
	v_add_f16_e32 v36, v37, v36
	v_fma_f16 v37, v78, s23, -v121
	v_add_f16_e32 v122, v51, v122
	v_fma_f16 v123, v68, s30, v88
	v_mul_f16_e32 v90, 0x3722, v90
	v_add_f16_e32 v36, v37, v36
	v_fma_f16 v37, v66, s29, v86
	v_add_f16_e32 v122, v123, v122
	v_fma_f16 v123, v71, s36, v90
	v_mul_f16_e32 v92, 0x2de8, v92
	v_add_f16_e32 v37, v51, v37
	v_fma_f16 v38, v68, s31, v88
	;; [unrolled: 5-line block ×8, first 2 shown]
	v_add_f16_e32 v123, v27, v123
	v_fma_f16 v124, v67, s24, v85
	v_mul_f16_e32 v87, 0xbb29, v87
	v_add_f16_e32 v37, v38, v37
	v_fma_f16 v38, v65, s23, -v83
	v_add_f16_e32 v123, v124, v123
	v_fma_f16 v124, v69, s14, v87
	v_mul_f16_e32 v89, 0xbbf7, v89
	v_add_f16_e32 v27, v27, v38
	v_fma_f16 v38, v67, s24, -v85
	;; [unrolled: 5-line block ×4, first 2 shown]
	v_add_f16_e32 v123, v124, v123
	v_fma_f16 v124, v74, s16, v93
	v_mul_f16_e32 v96, 0xb836, v96
	v_add_f16_e32 v14, v63, v14
	v_add_f16_e32 v27, v38, v27
	v_fma_f16 v38, v72, s22, -v91
	v_add_f16_e32 v123, v124, v123
	v_fma_f16 v124, v76, s26, v96
	v_mul_f16_e32 v100, 0xb1e1, v100
	v_add_f16_e32 v14, v64, v14
	v_add_f16_e32 v27, v38, v27
	v_fma_f16 v38, v74, s16, -v93
	v_add_f16_e32 v123, v124, v123
	v_fma_f16 v124, v78, s18, v100
	v_add_f16_e32 v14, v45, v14
	v_add_f16_e32 v27, v38, v27
	v_fma_f16 v38, v76, s26, -v96
	v_add_f16_e32 v123, v124, v123
	v_add_f16_e32 v13, v44, v13
	;; [unrolled: 1-line block ×4, first 2 shown]
	v_fma_f16 v38, v78, s18, -v100
	v_fma_f16 v233, v78, s16, v232
	v_add_f16_e32 v27, v38, v27
	v_lshlrev_b32_e32 v38, 2, v43
	v_pack_b32_f16 v39, v123, v122
	v_pack_b32_f16 v13, v13, v14
	v_add_f16_e32 v225, v233, v225
	ds_write2_b32 v38, v13, v39 offset1:1
	v_pack_b32_f16 v13, v95, v98
	v_pack_b32_f16 v14, v114, v102
	ds_write2_b32 v38, v14, v13 offset0:2 offset1:3
	v_pack_b32_f16 v13, v104, v108
	v_pack_b32_f16 v14, v225, v216
	ds_write2_b32 v38, v13, v14 offset0:4 offset1:5
	;; [unrolled: 3-line block ×4, first 2 shown]
	v_pack_b32_f16 v13, v32, v31
	v_pack_b32_f16 v14, v30, v29
	s_mov_b32 s14, 0x5040100
	ds_write2_b32 v38, v14, v13 offset0:10 offset1:11
	v_pack_b32_f16 v13, v34, v33
	v_perm_b32 v14, v50, v26, s14
	ds_write2_b32 v38, v13, v14 offset0:12 offset1:13
	v_pack_b32_f16 v13, v36, v35
	v_perm_b32 v14, v49, v48, s14
	ds_write2_b32 v38, v14, v13 offset0:14 offset1:15
	v_pack_b32_f16 v13, v27, v37
	ds_write_b32 v38, v13 offset:64
.LBB0_17:
	s_or_b64 exec, exec, s[4:5]
	s_waitcnt lgkmcnt(0)
	; wave barrier
	s_waitcnt lgkmcnt(0)
	ds_read2_b32 v[27:28], v41 offset1:51
	ds_read2_b32 v[29:30], v41 offset0:102 offset1:153
	ds_read2_b32 v[31:32], v41 offset0:204 offset1:255
	v_add_u32_e32 v13, 0x400, v41
	ds_read2_b32 v[33:34], v13 offset0:50 offset1:101
	s_waitcnt lgkmcnt(3)
	v_lshrrev_b32_e32 v14, 16, v28
	v_mul_f16_sdwa v56, v0, v14 dst_sel:DWORD dst_unused:UNUSED_PAD src0_sel:WORD_1 src1_sel:DWORD
	s_waitcnt lgkmcnt(2)
	v_lshrrev_b32_e32 v25, 16, v29
	v_fma_f16 v56, v0, v28, v56
	v_mul_f16_sdwa v28, v0, v28 dst_sel:DWORD dst_unused:UNUSED_PAD src0_sel:WORD_1 src1_sel:DWORD
	v_lshrrev_b32_e32 v39, 16, v30
	ds_read2_b32 v[35:36], v13 offset0:152 offset1:203
	v_fma_f16 v0, v0, v14, -v28
	v_mul_f16_sdwa v14, v1, v25 dst_sel:DWORD dst_unused:UNUSED_PAD src0_sel:WORD_1 src1_sel:DWORD
	v_mul_f16_sdwa v28, v1, v29 dst_sel:DWORD dst_unused:UNUSED_PAD src0_sel:WORD_1 src1_sel:DWORD
	s_waitcnt lgkmcnt(2)
	v_lshrrev_b32_e32 v40, 16, v31
	v_add_u32_e32 v37, 0x600, v41
	v_fma_f16 v14, v1, v29, v14
	v_fma_f16 v1, v1, v25, -v28
	v_mul_f16_sdwa v25, v2, v39 dst_sel:DWORD dst_unused:UNUSED_PAD src0_sel:WORD_1 src1_sel:DWORD
	v_mul_f16_sdwa v28, v2, v30 dst_sel:DWORD dst_unused:UNUSED_PAD src0_sel:WORD_1 src1_sel:DWORD
	v_lshrrev_b32_e32 v43, 16, v32
	ds_read2_b32 v[37:38], v37 offset0:126 offset1:177
	v_fma_f16 v25, v2, v30, v25
	v_fma_f16 v2, v2, v39, -v28
	v_mul_f16_sdwa v28, v3, v40 dst_sel:DWORD dst_unused:UNUSED_PAD src0_sel:WORD_1 src1_sel:DWORD
	v_mul_f16_sdwa v29, v3, v31 dst_sel:DWORD dst_unused:UNUSED_PAD src0_sel:WORD_1 src1_sel:DWORD
	s_waitcnt lgkmcnt(2)
	v_lshrrev_b32_e32 v44, 16, v33
	v_fma_f16 v28, v3, v31, v28
	v_fma_f16 v3, v3, v40, -v29
	v_mul_f16_sdwa v29, v4, v43 dst_sel:DWORD dst_unused:UNUSED_PAD src0_sel:WORD_1 src1_sel:DWORD
	v_mul_f16_sdwa v30, v4, v32 dst_sel:DWORD dst_unused:UNUSED_PAD src0_sel:WORD_1 src1_sel:DWORD
	v_lshrrev_b32_e32 v45, 16, v34
	ds_read_b32 v46, v41 offset:2448
	v_fma_f16 v29, v4, v32, v29
	v_fma_f16 v4, v4, v43, -v30
	v_mul_f16_sdwa v30, v5, v44 dst_sel:DWORD dst_unused:UNUSED_PAD src0_sel:WORD_1 src1_sel:DWORD
	v_mul_f16_sdwa v31, v5, v33 dst_sel:DWORD dst_unused:UNUSED_PAD src0_sel:WORD_1 src1_sel:DWORD
	s_waitcnt lgkmcnt(2)
	v_lshrrev_b32_e32 v51, 16, v35
	v_fma_f16 v30, v5, v33, v30
	v_fma_f16 v5, v5, v44, -v31
	v_mul_f16_sdwa v31, v6, v45 dst_sel:DWORD dst_unused:UNUSED_PAD src0_sel:WORD_1 src1_sel:DWORD
	v_mul_f16_sdwa v32, v6, v34 dst_sel:DWORD dst_unused:UNUSED_PAD src0_sel:WORD_1 src1_sel:DWORD
	v_lshrrev_b32_e32 v52, 16, v36
	v_fma_f16 v31, v6, v34, v31
	v_fma_f16 v6, v6, v45, -v32
	v_mul_f16_sdwa v32, v7, v51 dst_sel:DWORD dst_unused:UNUSED_PAD src0_sel:WORD_1 src1_sel:DWORD
	v_mul_f16_sdwa v33, v7, v35 dst_sel:DWORD dst_unused:UNUSED_PAD src0_sel:WORD_1 src1_sel:DWORD
	s_waitcnt lgkmcnt(1)
	v_lshrrev_b32_e32 v53, 16, v37
	v_fma_f16 v32, v7, v35, v32
	v_fma_f16 v7, v7, v51, -v33
	v_mul_f16_sdwa v33, v8, v52 dst_sel:DWORD dst_unused:UNUSED_PAD src0_sel:WORD_1 src1_sel:DWORD
	v_mul_f16_sdwa v34, v8, v36 dst_sel:DWORD dst_unused:UNUSED_PAD src0_sel:WORD_1 src1_sel:DWORD
	v_lshrrev_b32_e32 v54, 16, v38
	v_fma_f16 v33, v8, v36, v33
	v_fma_f16 v8, v8, v52, -v34
	v_mul_f16_sdwa v34, v9, v53 dst_sel:DWORD dst_unused:UNUSED_PAD src0_sel:WORD_1 src1_sel:DWORD
	v_mul_f16_sdwa v35, v9, v37 dst_sel:DWORD dst_unused:UNUSED_PAD src0_sel:WORD_1 src1_sel:DWORD
	s_waitcnt lgkmcnt(0)
	v_lshrrev_b32_e32 v55, 16, v46
	v_fma_f16 v34, v9, v37, v34
	v_fma_f16 v9, v9, v53, -v35
	v_mul_f16_sdwa v35, v10, v54 dst_sel:DWORD dst_unused:UNUSED_PAD src0_sel:WORD_1 src1_sel:DWORD
	v_mul_f16_sdwa v36, v10, v38 dst_sel:DWORD dst_unused:UNUSED_PAD src0_sel:WORD_1 src1_sel:DWORD
	v_fma_f16 v35, v10, v38, v35
	v_fma_f16 v10, v10, v54, -v36
	v_mul_f16_sdwa v36, v11, v55 dst_sel:DWORD dst_unused:UNUSED_PAD src0_sel:WORD_1 src1_sel:DWORD
	v_mul_f16_sdwa v37, v11, v46 dst_sel:DWORD dst_unused:UNUSED_PAD src0_sel:WORD_1 src1_sel:DWORD
	v_fma_f16 v36, v11, v46, v36
	v_fma_f16 v11, v11, v55, -v37
	v_add_f16_e32 v37, v27, v56
	v_add_f16_sdwa v38, v27, v0 dst_sel:DWORD dst_unused:UNUSED_PAD src0_sel:WORD_1 src1_sel:DWORD
	v_add_f16_e32 v37, v37, v14
	v_add_f16_e32 v38, v38, v1
	;; [unrolled: 1-line block ×21, first 2 shown]
	v_sub_f16_e32 v0, v0, v11
	v_add_f16_e32 v37, v37, v36
	v_add_f16_e32 v38, v38, v11
	;; [unrolled: 1-line block ×3, first 2 shown]
	v_sub_f16_e32 v36, v56, v36
	s_mov_b32 s18, 0xb770
	v_mul_f16_e32 v11, 0xb770, v0
	s_movk_i32 s19, 0x3b15
	v_mul_f16_e32 v44, 0x3b15, v40
	s_movk_i32 s20, 0x3770
	s_mov_b32 s15, 0xba95
	v_mul_f16_e32 v46, 0xba95, v0
	s_movk_i32 s16, 0x388b
	v_mul_f16_e32 v52, 0x388b, v40
	s_movk_i32 s17, 0x3a95
	s_mov_b32 s4, 0xbbf1
	v_mul_f16_e32 v54, 0xbbf1, v0
	s_movk_i32 s5, 0x2fb7
	v_mul_f16_e32 v56, 0x2fb7, v40
	s_movk_i32 s14, 0x3bf1
	s_mov_b32 s21, 0xbb7b
	v_mul_f16_e32 v58, 0xbb7b, v0
	s_mov_b32 s22, 0xb5ac
	v_mul_f16_e32 v60, 0xb5ac, v40
	s_movk_i32 s23, 0x3b7b
	s_mov_b32 s24, 0xb94e
	v_mul_f16_e32 v62, 0xb94e, v0
	s_mov_b32 s25, 0xb9fd
	v_mul_f16_e32 v64, 0xb9fd, v40
	s_movk_i32 s26, 0x394e
	s_mov_b32 s27, 0xb3a8
	v_mul_f16_e32 v0, 0xb3a8, v0
	s_mov_b32 s28, 0xbbc4
	v_mul_f16_e32 v40, 0xbbc4, v40
	s_movk_i32 s29, 0x33a8
	v_fma_f16 v43, v39, s19, v11
	v_fma_f16 v45, v36, s20, v44
	v_fma_f16 v11, v39, s19, -v11
	v_fma_f16 v44, v36, s18, v44
	v_fma_f16 v51, v39, s16, v46
	v_fma_f16 v53, v36, s17, v52
	v_fma_f16 v46, v39, s16, -v46
	v_fma_f16 v52, v36, s15, v52
	;; [unrolled: 4-line block ×6, first 2 shown]
	v_add_f16_e32 v39, v1, v10
	v_sub_f16_e32 v1, v1, v10
	v_add_f16_e32 v43, v27, v43
	v_add_f16_sdwa v45, v27, v45 dst_sel:DWORD dst_unused:UNUSED_PAD src0_sel:WORD_1 src1_sel:DWORD
	v_add_f16_e32 v11, v27, v11
	v_add_f16_sdwa v44, v27, v44 dst_sel:DWORD dst_unused:UNUSED_PAD src0_sel:WORD_1 src1_sel:DWORD
	;; [unrolled: 2-line block ×12, first 2 shown]
	v_add_f16_e32 v36, v14, v35
	v_mul_f16_e32 v10, 0xba95, v1
	v_sub_f16_e32 v14, v14, v35
	v_fma_f16 v35, v36, s16, v10
	v_mul_f16_e32 v40, 0x388b, v39
	v_fma_f16 v10, v36, s16, -v10
	v_add_f16_e32 v35, v35, v43
	v_fma_f16 v43, v14, s17, v40
	v_add_f16_e32 v10, v10, v11
	v_fma_f16 v11, v14, s15, v40
	v_mul_f16_e32 v40, 0xbb7b, v1
	v_add_f16_e32 v43, v43, v45
	v_add_f16_e32 v11, v11, v44
	v_fma_f16 v44, v36, s22, v40
	v_mul_f16_e32 v45, 0xb5ac, v39
	v_fma_f16 v40, v36, s22, -v40
	v_add_f16_e32 v44, v44, v51
	v_fma_f16 v51, v14, s23, v45
	v_add_f16_e32 v40, v40, v46
	v_fma_f16 v45, v14, s21, v45
	v_mul_f16_e32 v46, 0xb3a8, v1
	v_add_f16_e32 v51, v51, v53
	v_add_f16_e32 v45, v45, v52
	;; [unrolled: 10-line block ×3, first 2 shown]
	v_fma_f16 v56, v36, s25, v54
	v_mul_f16_e32 v57, 0xb9fd, v39
	v_fma_f16 v54, v36, s25, -v54
	v_add_f16_e32 v56, v56, v59
	v_fma_f16 v59, v14, s24, v57
	v_add_f16_e32 v54, v54, v58
	v_fma_f16 v57, v14, s26, v57
	v_mul_f16_e32 v58, 0x3bf1, v1
	v_add_f16_e32 v57, v57, v60
	v_fma_f16 v60, v36, s5, v58
	v_fma_f16 v58, v36, s5, -v58
	v_mul_f16_e32 v1, 0x3770, v1
	v_add_f16_e32 v59, v59, v61
	v_mul_f16_e32 v61, 0x2fb7, v39
	v_add_f16_e32 v58, v58, v62
	v_fma_f16 v62, v36, s19, v1
	v_mul_f16_e32 v39, 0x3b15, v39
	v_fma_f16 v1, v36, s19, -v1
	v_add_f16_e32 v0, v1, v0
	v_fma_f16 v1, v14, s20, v39
	v_add_f16_e32 v60, v60, v63
	v_fma_f16 v63, v14, s4, v61
	v_fma_f16 v61, v14, s14, v61
	v_add_f16_e32 v1, v1, v27
	v_add_f16_e32 v27, v2, v9
	v_sub_f16_e32 v2, v2, v9
	v_add_f16_e32 v61, v61, v64
	v_fma_f16 v64, v14, s18, v39
	v_add_f16_e32 v14, v25, v34
	v_mul_f16_e32 v9, 0xbbf1, v2
	v_sub_f16_e32 v25, v25, v34
	v_fma_f16 v34, v14, s5, v9
	v_add_f16_e32 v34, v34, v35
	v_mul_f16_e32 v35, 0x2fb7, v27
	v_fma_f16 v9, v14, s5, -v9
	v_add_f16_e32 v9, v9, v10
	v_fma_f16 v10, v25, s4, v35
	v_add_f16_e32 v10, v10, v11
	v_mul_f16_e32 v11, 0xb3a8, v2
	v_fma_f16 v36, v25, s14, v35
	v_fma_f16 v35, v14, s28, v11
	v_fma_f16 v11, v14, s28, -v11
	v_mul_f16_e32 v39, 0xbbc4, v27
	v_add_f16_e32 v11, v11, v40
	v_mul_f16_e32 v40, 0x3b7b, v2
	v_add_f16_e32 v36, v36, v43
	v_add_f16_e32 v35, v35, v44
	v_fma_f16 v43, v25, s29, v39
	v_fma_f16 v39, v25, s27, v39
	;; [unrolled: 1-line block ×3, first 2 shown]
	v_fma_f16 v40, v14, s22, -v40
	v_add_f16_e32 v39, v39, v45
	v_mul_f16_e32 v45, 0xb5ac, v27
	v_add_f16_e32 v40, v40, v46
	v_mul_f16_e32 v46, 0x3770, v2
	v_add_f16_e32 v43, v43, v51
	v_add_f16_e32 v44, v44, v52
	v_fma_f16 v51, v25, s21, v45
	v_fma_f16 v45, v25, s23, v45
	;; [unrolled: 1-line block ×3, first 2 shown]
	v_fma_f16 v46, v14, s19, -v46
	v_add_f16_e32 v45, v45, v53
	v_mul_f16_e32 v53, 0x3b15, v27
	v_add_f16_e32 v46, v46, v54
	v_mul_f16_e32 v54, 0xba95, v2
	v_add_f16_e32 v51, v51, v55
	v_add_f16_e32 v52, v52, v56
	v_fma_f16 v55, v25, s18, v53
	v_fma_f16 v53, v25, s20, v53
	;; [unrolled: 1-line block ×3, first 2 shown]
	v_fma_f16 v54, v14, s16, -v54
	v_mul_f16_e32 v2, 0xb94e, v2
	v_add_f16_e32 v53, v53, v57
	v_mul_f16_e32 v57, 0x388b, v27
	v_add_f16_e32 v54, v54, v58
	v_fma_f16 v58, v14, s25, v2
	v_mul_f16_e32 v27, 0xb9fd, v27
	v_fma_f16 v2, v14, s25, -v2
	v_add_f16_e32 v0, v2, v0
	v_fma_f16 v2, v25, s24, v27
	v_add_f16_e32 v14, v3, v8
	v_sub_f16_e32 v3, v3, v8
	v_add_f16_e32 v1, v2, v1
	v_add_f16_e32 v2, v28, v33
	v_mul_f16_e32 v8, 0xbb7b, v3
	v_add_f16_e32 v55, v55, v59
	v_add_f16_e32 v56, v56, v60
	v_fma_f16 v59, v25, s17, v57
	v_fma_f16 v57, v25, s15, v57
	;; [unrolled: 1-line block ×3, first 2 shown]
	v_sub_f16_e32 v25, v28, v33
	v_fma_f16 v27, v2, s22, v8
	v_mul_f16_e32 v28, 0xb5ac, v14
	v_fma_f16 v8, v2, s22, -v8
	v_add_f16_e32 v8, v8, v9
	v_fma_f16 v9, v25, s21, v28
	v_add_f16_e32 v9, v9, v10
	v_mul_f16_e32 v10, 0x394e, v3
	v_add_f16_e32 v27, v27, v34
	v_fma_f16 v33, v25, s23, v28
	v_fma_f16 v28, v2, s25, v10
	v_mul_f16_e32 v34, 0xb9fd, v14
	v_fma_f16 v10, v2, s25, -v10
	v_add_f16_e32 v28, v28, v35
	v_fma_f16 v35, v25, s24, v34
	v_add_f16_e32 v10, v10, v11
	v_fma_f16 v11, v25, s26, v34
	v_mul_f16_e32 v34, 0x3770, v3
	v_add_f16_e32 v33, v33, v36
	v_fma_f16 v36, v2, s19, v34
	v_fma_f16 v34, v2, s19, -v34
	v_add_f16_e32 v11, v11, v39
	v_mul_f16_e32 v39, 0x3b15, v14
	v_add_f16_e32 v34, v34, v40
	v_mul_f16_e32 v40, 0xbbf1, v3
	v_add_f16_e32 v35, v35, v43
	v_add_f16_e32 v36, v36, v44
	v_fma_f16 v43, v25, s18, v39
	v_fma_f16 v39, v25, s20, v39
	;; [unrolled: 1-line block ×3, first 2 shown]
	v_fma_f16 v40, v2, s5, -v40
	v_add_f16_e32 v39, v39, v45
	v_mul_f16_e32 v45, 0x2fb7, v14
	v_add_f16_e32 v40, v40, v46
	v_mul_f16_e32 v46, 0x33a8, v3
	v_add_f16_e32 v43, v43, v51
	v_add_f16_e32 v44, v44, v52
	v_fma_f16 v51, v25, s14, v45
	v_fma_f16 v45, v25, s4, v45
	v_fma_f16 v52, v2, s28, v46
	v_fma_f16 v46, v2, s28, -v46
	v_mul_f16_e32 v3, 0x3a95, v3
	v_add_f16_e32 v45, v45, v53
	v_mul_f16_e32 v53, 0xbbc4, v14
	v_add_f16_e32 v46, v46, v54
	v_fma_f16 v54, v2, s16, v3
	v_mul_f16_e32 v14, 0x388b, v14
	v_fma_f16 v2, v2, s16, -v3
	v_add_f16_e32 v0, v2, v0
	v_fma_f16 v2, v25, s17, v14
	v_add_f16_e32 v3, v4, v7
	v_sub_f16_e32 v4, v4, v7
	v_add_f16_e32 v1, v2, v1
	v_add_f16_e32 v2, v29, v32
	v_mul_f16_e32 v7, 0xb94e, v4
	v_add_f16_e32 v51, v51, v55
	v_add_f16_e32 v52, v52, v56
	v_fma_f16 v55, v25, s27, v53
	v_fma_f16 v53, v25, s29, v53
	;; [unrolled: 1-line block ×4, first 2 shown]
	v_sub_f16_e32 v14, v29, v32
	v_add_f16_e32 v25, v25, v27
	v_mul_f16_e32 v27, 0xb9fd, v3
	v_fma_f16 v7, v2, s25, -v7
	v_add_f16_e32 v7, v7, v8
	v_fma_f16 v8, v14, s24, v27
	v_add_f16_e32 v8, v8, v9
	v_mul_f16_e32 v9, 0x3bf1, v4
	v_fma_f16 v29, v14, s26, v27
	v_fma_f16 v27, v2, s5, v9
	v_add_f16_e32 v27, v27, v28
	v_mul_f16_e32 v28, 0x2fb7, v3
	v_fma_f16 v9, v2, s5, -v9
	v_add_f16_e32 v9, v9, v10
	v_fma_f16 v10, v14, s14, v28
	v_add_f16_e32 v10, v10, v11
	v_mul_f16_e32 v11, 0xba95, v4
	v_fma_f16 v32, v14, s4, v28
	v_fma_f16 v28, v2, s16, v11
	v_fma_f16 v11, v2, s16, -v11
	v_add_f16_e32 v29, v29, v33
	v_mul_f16_e32 v33, 0x388b, v3
	v_add_f16_e32 v11, v11, v34
	v_mul_f16_e32 v34, 0x33a8, v4
	v_add_f16_e32 v32, v32, v35
	v_add_f16_e32 v28, v28, v36
	v_fma_f16 v35, v14, s17, v33
	v_fma_f16 v33, v14, s15, v33
	;; [unrolled: 1-line block ×3, first 2 shown]
	v_fma_f16 v34, v2, s28, -v34
	v_add_f16_e32 v33, v33, v39
	v_mul_f16_e32 v39, 0xbbc4, v3
	v_add_f16_e32 v34, v34, v40
	v_mul_f16_e32 v40, 0x3770, v4
	v_add_f16_e32 v35, v35, v43
	v_add_f16_e32 v36, v36, v44
	v_fma_f16 v43, v14, s27, v39
	v_fma_f16 v39, v14, s29, v39
	v_fma_f16 v44, v2, s19, v40
	v_fma_f16 v40, v2, s19, -v40
	v_mul_f16_e32 v4, 0xbb7b, v4
	v_add_f16_e32 v39, v39, v45
	v_mul_f16_e32 v45, 0x3b15, v3
	v_add_f16_e32 v40, v40, v46
	v_fma_f16 v46, v2, s22, v4
	v_mul_f16_e32 v3, 0xb5ac, v3
	v_fma_f16 v2, v2, s22, -v4
	v_add_f16_e32 v44, v44, v52
	v_fma_f16 v52, v14, s23, v3
	v_add_f16_e32 v0, v2, v0
	v_fma_f16 v2, v14, s21, v3
	v_add_f16_e32 v3, v5, v6
	v_sub_f16_e32 v5, v5, v6
	v_add_f16_e32 v1, v2, v1
	v_add_f16_e32 v2, v30, v31
	v_mul_f16_e32 v6, 0xb3a8, v5
	v_add_f16_e32 v43, v43, v51
	v_fma_f16 v51, v14, s18, v45
	v_fma_f16 v45, v14, s20, v45
	;; [unrolled: 1-line block ×3, first 2 shown]
	v_sub_f16_e32 v4, v30, v31
	v_add_f16_e32 v30, v14, v25
	v_mul_f16_e32 v14, 0xbbc4, v3
	v_fma_f16 v25, v4, s29, v14
	v_fma_f16 v6, v2, s28, -v6
	v_add_f16_e32 v29, v25, v29
	v_add_f16_e32 v25, v6, v7
	v_fma_f16 v6, v4, s27, v14
	v_add_f16_e32 v14, v6, v8
	v_mul_f16_e32 v6, 0x3770, v5
	v_fma_f16 v7, v2, s19, v6
	v_mul_f16_e32 v8, 0x3b15, v3
	v_fma_f16 v6, v2, s19, -v6
	v_add_f16_e32 v7, v7, v27
	v_fma_f16 v27, v4, s18, v8
	v_add_f16_e32 v6, v6, v9
	v_fma_f16 v8, v4, s20, v8
	v_mul_f16_e32 v9, 0xb94e, v5
	v_add_f16_e32 v8, v8, v10
	v_fma_f16 v10, v2, s25, v9
	v_add_f16_e32 v10, v10, v28
	v_mul_f16_e32 v28, 0xb9fd, v3
	v_fma_f16 v9, v2, s25, -v9
	v_fma_f16 v31, v4, s26, v28
	v_add_f16_e32 v9, v9, v11
	v_fma_f16 v11, v4, s24, v28
	v_mul_f16_e32 v28, 0x3a95, v5
	v_add_f16_e32 v27, v27, v32
	v_fma_f16 v32, v2, s16, v28
	v_fma_f16 v28, v2, s16, -v28
	v_add_f16_e32 v11, v11, v33
	v_mul_f16_e32 v33, 0x388b, v3
	v_add_f16_e32 v28, v28, v34
	v_mul_f16_e32 v34, 0xbb7b, v5
	v_add_f16_e32 v63, v63, v65
	v_add_f16_e32 v31, v31, v35
	;; [unrolled: 1-line block ×3, first 2 shown]
	v_fma_f16 v35, v4, s15, v33
	v_fma_f16 v33, v4, s17, v33
	;; [unrolled: 1-line block ×3, first 2 shown]
	v_fma_f16 v34, v2, s22, -v34
	v_mul_f16_e32 v5, 0x3bf1, v5
	v_add_f16_e32 v62, v62, v66
	v_add_f16_e32 v64, v64, v67
	;; [unrolled: 1-line block ×4, first 2 shown]
	v_mul_f16_e32 v39, 0xb5ac, v3
	v_add_f16_e32 v34, v34, v40
	v_fma_f16 v40, v2, s5, v5
	v_mul_f16_e32 v3, 0x2fb7, v3
	v_fma_f16 v2, v2, s5, -v5
	v_add_f16_e32 v58, v58, v62
	v_add_f16_e32 v60, v60, v64
	;; [unrolled: 1-line block ×4, first 2 shown]
	v_fma_f16 v2, v4, s14, v3
	v_add_f16_e32 v57, v57, v61
	v_add_f16_e32 v54, v54, v58
	;; [unrolled: 1-line block ×6, first 2 shown]
	v_fma_f16 v43, v4, s23, v39
	v_fma_f16 v44, v4, s4, v3
	v_add_f16_e32 v1, v2, v1
	v_pack_b32_f16 v2, v37, v38
	v_pack_b32_f16 v3, v30, v29
	v_add_f16_e32 v53, v53, v57
	v_add_f16_e32 v46, v46, v54
	;; [unrolled: 1-line block ×4, first 2 shown]
	s_waitcnt lgkmcnt(0)
	; wave barrier
	ds_write2_b32 v47, v2, v3 offset1:17
	v_pack_b32_f16 v2, v7, v27
	v_pack_b32_f16 v3, v10, v31
	v_add_f16_e32 v45, v45, v53
	v_fma_f16 v39, v4, s21, v39
	v_add_f16_e32 v40, v40, v46
	v_add_f16_e32 v44, v44, v52
	ds_write2_b32 v47, v2, v3 offset0:34 offset1:51
	v_pack_b32_f16 v2, v32, v35
	v_pack_b32_f16 v3, v36, v43
	v_add_f16_e32 v39, v39, v45
	ds_write2_b32 v47, v2, v3 offset0:68 offset1:85
	v_pack_b32_f16 v2, v40, v44
	v_pack_b32_f16 v0, v0, v1
	ds_write2_b32 v47, v2, v0 offset0:102 offset1:119
	v_pack_b32_f16 v0, v34, v39
	v_pack_b32_f16 v1, v28, v33
	;; [unrolled: 3-line block ×3, first 2 shown]
	ds_write2_b32 v47, v0, v1 offset0:170 offset1:187
	v_pack_b32_f16 v0, v25, v14
	v_add_u32_e32 v27, 0x200, v41
	ds_write_b32 v47, v0 offset:816
	s_waitcnt lgkmcnt(0)
	; wave barrier
	s_waitcnt lgkmcnt(0)
	ds_read2_b32 v[2:3], v41 offset1:51
	ds_read2_b32 v[10:11], v27 offset0:93 offset1:144
	ds_read2_b32 v[8:9], v13 offset0:186 offset1:237
	;; [unrolled: 1-line block ×4, first 2 shown]
	v_add_u32_e32 v28, 0x800, v41
	ds_read2_b32 v[6:7], v28 offset0:32 offset1:83
	s_and_saveexec_b64 s[4:5], s[2:3]
	s_cbranch_execz .LBB0_19
; %bb.18:
	v_add_u32_e32 v14, 0x300, v41
	ds_read2_b32 v[25:26], v14 offset0:12 offset1:233
	ds_read_b32 v48, v41 offset:2584
	s_waitcnt lgkmcnt(1)
	v_lshrrev_b32_e32 v14, 16, v25
	v_lshrrev_b32_e32 v50, 16, v26
	s_waitcnt lgkmcnt(0)
	v_lshrrev_b32_e32 v49, 16, v48
.LBB0_19:
	s_or_b64 exec, exec, s[4:5]
	s_waitcnt lgkmcnt(4)
	v_lshrrev_b32_e32 v30, 16, v10
	v_mul_f16_sdwa v43, v17, v30 dst_sel:DWORD dst_unused:UNUSED_PAD src0_sel:WORD_1 src1_sel:DWORD
	s_waitcnt lgkmcnt(3)
	v_lshrrev_b32_e32 v31, 16, v8
	v_fma_f16 v43, v17, v10, v43
	v_mul_f16_sdwa v10, v17, v10 dst_sel:DWORD dst_unused:UNUSED_PAD src0_sel:WORD_1 src1_sel:DWORD
	v_fma_f16 v10, v17, v30, -v10
	v_mul_f16_sdwa v17, v18, v31 dst_sel:DWORD dst_unused:UNUSED_PAD src0_sel:WORD_1 src1_sel:DWORD
	v_lshrrev_b32_e32 v33, 16, v11
	v_fma_f16 v17, v18, v8, v17
	v_mul_f16_sdwa v8, v18, v8 dst_sel:DWORD dst_unused:UNUSED_PAD src0_sel:WORD_1 src1_sel:DWORD
	v_fma_f16 v8, v18, v31, -v8
	v_mul_f16_sdwa v18, v19, v33 dst_sel:DWORD dst_unused:UNUSED_PAD src0_sel:WORD_1 src1_sel:DWORD
	;; [unrolled: 5-line block ×3, first 2 shown]
	s_waitcnt lgkmcnt(1)
	v_lshrrev_b32_e32 v36, 16, v4
	v_fma_f16 v19, v20, v9, v19
	v_mul_f16_sdwa v9, v20, v9 dst_sel:DWORD dst_unused:UNUSED_PAD src0_sel:WORD_1 src1_sel:DWORD
	v_fma_f16 v9, v20, v34, -v9
	v_mul_f16_sdwa v20, v21, v36 dst_sel:DWORD dst_unused:UNUSED_PAD src0_sel:WORD_1 src1_sel:DWORD
	s_waitcnt lgkmcnt(0)
	v_lshrrev_b32_e32 v37, 16, v6
	v_fma_f16 v20, v21, v4, v20
	v_mul_f16_sdwa v4, v21, v4 dst_sel:DWORD dst_unused:UNUSED_PAD src0_sel:WORD_1 src1_sel:DWORD
	v_fma_f16 v4, v21, v36, -v4
	v_mul_f16_sdwa v21, v22, v37 dst_sel:DWORD dst_unused:UNUSED_PAD src0_sel:WORD_1 src1_sel:DWORD
	v_lshrrev_b32_e32 v39, 16, v5
	v_fma_f16 v21, v22, v6, v21
	v_mul_f16_sdwa v6, v22, v6 dst_sel:DWORD dst_unused:UNUSED_PAD src0_sel:WORD_1 src1_sel:DWORD
	v_fma_f16 v6, v22, v37, -v6
	v_mul_f16_sdwa v22, v23, v39 dst_sel:DWORD dst_unused:UNUSED_PAD src0_sel:WORD_1 src1_sel:DWORD
	;; [unrolled: 5-line block ×3, first 2 shown]
	v_fma_f16 v23, v24, v7, v23
	v_mul_f16_sdwa v7, v24, v7 dst_sel:DWORD dst_unused:UNUSED_PAD src0_sel:WORD_1 src1_sel:DWORD
	v_add_f16_e32 v30, v43, v17
	v_lshrrev_b32_e32 v29, 16, v2
	v_fma_f16 v7, v24, v40, -v7
	v_add_f16_e32 v24, v2, v43
	v_fma_f16 v2, v30, -0.5, v2
	v_sub_f16_e32 v30, v10, v8
	s_mov_b32 s14, 0xbaee
	s_movk_i32 s15, 0x3aee
	v_fma_f16 v31, v30, s14, v2
	v_fma_f16 v2, v30, s15, v2
	v_add_f16_e32 v30, v29, v10
	v_add_f16_e32 v30, v30, v8
	;; [unrolled: 1-line block ×3, first 2 shown]
	v_fma_f16 v8, v8, -0.5, v29
	v_sub_f16_e32 v10, v43, v17
	v_add_f16_e32 v29, v18, v19
	v_lshrrev_b32_e32 v32, 16, v3
	v_add_f16_e32 v24, v24, v17
	v_fma_f16 v17, v10, s15, v8
	v_fma_f16 v8, v10, s14, v8
	v_add_f16_e32 v10, v3, v18
	v_fma_f16 v3, v29, -0.5, v3
	v_sub_f16_e32 v29, v11, v9
	v_fma_f16 v33, v29, s14, v3
	v_fma_f16 v3, v29, s15, v3
	v_add_f16_e32 v29, v32, v11
	v_add_f16_e32 v29, v29, v9
	;; [unrolled: 1-line block ×4, first 2 shown]
	v_fma_f16 v9, v9, -0.5, v32
	v_sub_f16_e32 v11, v18, v19
	v_add_f16_e32 v19, v20, v21
	v_lshrrev_b32_e32 v35, 16, v0
	v_fma_f16 v18, v11, s15, v9
	v_fma_f16 v9, v11, s14, v9
	v_add_f16_e32 v11, v0, v20
	v_fma_f16 v0, v19, -0.5, v0
	v_sub_f16_e32 v19, v4, v6
	v_fma_f16 v32, v19, s14, v0
	v_fma_f16 v0, v19, s15, v0
	v_add_f16_e32 v19, v35, v4
	v_add_f16_e32 v4, v4, v6
	;; [unrolled: 1-line block ×4, first 2 shown]
	v_fma_f16 v4, v4, -0.5, v35
	v_sub_f16_e32 v6, v20, v21
	v_add_f16_e32 v21, v22, v23
	v_lshrrev_b32_e32 v38, 16, v1
	v_fma_f16 v20, v6, s15, v4
	v_fma_f16 v4, v6, s14, v4
	v_add_f16_e32 v6, v1, v22
	v_fma_f16 v1, v21, -0.5, v1
	v_sub_f16_e32 v21, v5, v7
	v_fma_f16 v34, v21, s14, v1
	v_fma_f16 v1, v21, s15, v1
	v_add_f16_e32 v21, v38, v5
	v_add_f16_e32 v5, v5, v7
	;; [unrolled: 1-line block ×4, first 2 shown]
	v_fma_f16 v5, v5, -0.5, v38
	v_sub_f16_e32 v7, v22, v23
	v_pack_b32_f16 v2, v2, v8
	v_pack_b32_f16 v3, v3, v9
	v_fma_f16 v22, v7, s15, v5
	v_fma_f16 v5, v7, s14, v5
	v_pack_b32_f16 v7, v24, v30
	v_pack_b32_f16 v8, v10, v29
	ds_write2_b32 v13, v2, v3 offset0:186 offset1:237
	v_pack_b32_f16 v2, v11, v19
	v_pack_b32_f16 v0, v0, v4
	;; [unrolled: 1-line block ×4, first 2 shown]
	ds_write2_b32 v41, v7, v8 offset1:51
	v_pack_b32_f16 v7, v33, v18
	v_pack_b32_f16 v3, v32, v20
	ds_write2_b32 v41, v2, v4 offset0:102 offset1:153
	v_pack_b32_f16 v2, v34, v22
	v_pack_b32_f16 v1, v1, v5
	ds_write2_b32 v27, v17, v7 offset0:93 offset1:144
	ds_write2_b32 v13, v3, v2 offset0:67 offset1:118
	ds_write2_b32 v28, v0, v1 offset0:32 offset1:83
	s_and_saveexec_b64 s[4:5], s[2:3]
	s_cbranch_execz .LBB0_21
; %bb.20:
	v_mul_f16_sdwa v0, v15, v26 dst_sel:DWORD dst_unused:UNUSED_PAD src0_sel:WORD_1 src1_sel:DWORD
	v_mul_f16_sdwa v1, v16, v48 dst_sel:DWORD dst_unused:UNUSED_PAD src0_sel:WORD_1 src1_sel:DWORD
	v_fma_f16 v0, v15, v50, -v0
	v_fma_f16 v1, v16, v49, -v1
	v_mul_f16_sdwa v3, v15, v50 dst_sel:DWORD dst_unused:UNUSED_PAD src0_sel:WORD_1 src1_sel:DWORD
	v_mul_f16_sdwa v4, v16, v49 dst_sel:DWORD dst_unused:UNUSED_PAD src0_sel:WORD_1 src1_sel:DWORD
	v_add_f16_e32 v2, v0, v1
	v_fma_f16 v3, v15, v26, v3
	v_fma_f16 v4, v16, v48, v4
	v_fma_f16 v2, v2, -0.5, v14
	v_sub_f16_e32 v5, v3, v4
	v_add_f16_e32 v7, v3, v4
	v_fma_f16 v6, v5, s14, v2
	v_fma_f16 v2, v5, s15, v2
	v_add_f16_e32 v5, v14, v0
	v_fma_f16 v7, v7, -0.5, v25
	v_sub_f16_e32 v0, v0, v1
	v_add_f16_e32 v3, v25, v3
	v_add_f16_e32 v5, v5, v1
	v_fma_f16 v1, v0, s15, v7
	v_fma_f16 v0, v0, s14, v7
	v_add_f16_e32 v3, v3, v4
	v_pack_b32_f16 v3, v3, v5
	v_pack_b32_f16 v0, v0, v2
	v_add_u32_e32 v2, 0x300, v41
	ds_write2_b32 v2, v3, v0 offset0:12 offset1:233
	v_pack_b32_f16 v0, v1, v6
	ds_write_b32 v41, v0 offset:2584
.LBB0_21:
	s_or_b64 exec, exec, s[4:5]
	s_waitcnt lgkmcnt(0)
	; wave barrier
	s_waitcnt lgkmcnt(0)
	s_and_b64 exec, exec, s[0:1]
	s_cbranch_execz .LBB0_23
; %bb.22:
	global_load_dword v8, v41, s[6:7]
	ds_read_b32 v9, v41
	v_mad_u64_u32 v[1:2], s[0:1], s10, v12, 0
	v_mad_u64_u32 v[3:4], s[0:1], s8, v42, 0
	s_mov_b32 s14, 0x18b64019
	s_mov_b32 s15, 0x3f58b640
	v_mad_u64_u32 v[5:6], s[0:1], s11, v12, v[2:3]
	v_mov_b32_e32 v10, s13
	s_movk_i32 s16, 0x1ff
	v_mad_u64_u32 v[6:7], s[0:1], s9, v42, v[4:5]
	s_waitcnt lgkmcnt(0)
	v_lshrrev_b32_e32 v7, 16, v9
	v_mov_b32_e32 v2, v5
	v_mov_b32_e32 v4, v6
	v_lshlrev_b64 v[1:2], 2, v[1:2]
	v_lshlrev_b64 v[3:4], 2, v[3:4]
	s_movk_i32 s10, 0xffe
	v_mov_b32_e32 v0, 0x7c00
	s_movk_i32 s18, 0x40f
	s_mov_b32 s17, 0x8000
	s_waitcnt vmcnt(0)
	v_mul_f16_sdwa v5, v7, v8 dst_sel:DWORD dst_unused:UNUSED_PAD src0_sel:DWORD src1_sel:WORD_1
	v_fma_f16 v5, v9, v8, v5
	v_mul_f16_sdwa v6, v9, v8 dst_sel:DWORD dst_unused:UNUSED_PAD src0_sel:DWORD src1_sel:WORD_1
	v_cvt_f32_f16_e32 v5, v5
	v_fma_f16 v6, v8, v7, -v6
	v_cvt_f32_f16_e32 v7, v6
	v_add_co_u32_e32 v9, vcc, s12, v1
	v_cvt_f64_f32_e32 v[5:6], v5
	v_cvt_f64_f32_e32 v[7:8], v7
	v_addc_co_u32_e32 v10, vcc, v10, v2, vcc
	v_mul_f64 v[5:6], v[5:6], s[14:15]
	v_mul_f64 v[1:2], v[7:8], s[14:15]
	v_add_co_u32_e32 v3, vcc, v9, v3
	v_addc_co_u32_e32 v4, vcc, v10, v4, vcc
	v_and_or_b32 v5, v6, s16, v5
	v_and_or_b32 v1, v2, s16, v1
	v_cmp_ne_u32_e32 vcc, 0, v5
	v_lshrrev_b32_e32 v7, 8, v6
	v_bfe_u32 v8, v6, 20, 11
	v_cndmask_b32_e64 v5, 0, 1, vcc
	v_cmp_ne_u32_e32 vcc, 0, v1
	v_lshrrev_b32_e32 v9, 8, v2
	v_bfe_u32 v10, v2, 20, 11
	v_sub_u32_e32 v11, 0x3f1, v8
	v_cndmask_b32_e64 v1, 0, 1, vcc
	v_and_or_b32 v5, v7, s10, v5
	v_sub_u32_e32 v12, 0x3f1, v10
	v_med3_i32 v7, v11, 0, 13
	v_and_or_b32 v1, v9, s10, v1
	v_or_b32_e32 v11, 0x1000, v5
	v_add_u32_e32 v8, 0xfffffc10, v8
	v_med3_i32 v9, v12, 0, 13
	v_cmp_ne_u32_e32 vcc, 0, v5
	v_or_b32_e32 v13, 0x1000, v1
	v_lshrrev_b32_e32 v15, v7, v11
	v_add_u32_e32 v10, 0xfffffc10, v10
	v_lshl_or_b32 v12, v8, 12, v5
	v_cndmask_b32_e64 v5, 0, 1, vcc
	v_cmp_ne_u32_e32 vcc, 0, v1
	v_lshrrev_b32_e32 v16, v9, v13
	v_lshlrev_b32_e32 v7, v7, v15
	v_lshl_or_b32 v14, v10, 12, v1
	v_cndmask_b32_e64 v1, 0, 1, vcc
	v_lshlrev_b32_e32 v9, v9, v16
	v_cmp_ne_u32_e32 vcc, v7, v11
	v_cndmask_b32_e64 v7, 0, 1, vcc
	v_cmp_ne_u32_e32 vcc, v9, v13
	v_cndmask_b32_e64 v9, 0, 1, vcc
	v_or_b32_e32 v7, v15, v7
	v_cmp_gt_i32_e32 vcc, 1, v8
	v_cndmask_b32_e32 v7, v12, v7, vcc
	v_or_b32_e32 v9, v16, v9
	v_cmp_gt_i32_e32 vcc, 1, v10
	v_and_b32_e32 v11, 7, v7
	v_cndmask_b32_e32 v9, v14, v9, vcc
	v_cmp_lt_i32_e32 vcc, 5, v11
	v_cmp_eq_u32_e64 s[0:1], 3, v11
	v_lshrrev_b32_e32 v7, 2, v7
	v_and_b32_e32 v12, 7, v9
	s_or_b64 vcc, s[0:1], vcc
	v_cmp_lt_i32_e64 s[2:3], 5, v12
	v_cmp_eq_u32_e64 s[4:5], 3, v12
	v_addc_co_u32_e32 v7, vcc, 0, v7, vcc
	v_lshrrev_b32_e32 v9, 2, v9
	s_or_b64 vcc, s[4:5], s[2:3]
	v_addc_co_u32_e32 v9, vcc, 0, v9, vcc
	v_cmp_gt_i32_e32 vcc, 31, v8
	v_cndmask_b32_e32 v7, v0, v7, vcc
	v_cmp_gt_i32_e32 vcc, 31, v10
	v_lshl_or_b32 v5, v5, 9, v0
	v_cndmask_b32_e32 v9, v0, v9, vcc
	v_cmp_eq_u32_e32 vcc, s18, v8
	v_lshrrev_b32_e32 v6, 16, v6
	v_lshl_or_b32 v1, v1, 9, v0
	v_cndmask_b32_e32 v5, v7, v5, vcc
	v_cmp_eq_u32_e32 vcc, s18, v10
	v_lshrrev_b32_e32 v2, 16, v2
	v_cndmask_b32_e32 v1, v9, v1, vcc
	v_and_or_b32 v5, v6, s17, v5
	v_and_or_b32 v1, v2, s17, v1
	v_and_b32_e32 v2, 0xffff, v5
	v_lshl_or_b32 v1, v1, 16, v2
	global_store_dword v[3:4], v1, off
	global_load_dword v5, v41, s[6:7] offset:156
	ds_read2_b32 v[1:2], v41 offset0:39 offset1:78
	s_mul_i32 s0, s9, 0x9c
	s_mul_hi_u32 s9, s8, 0x9c
	s_mulk_i32 s8, 0x9c
	s_add_i32 s9, s9, s0
	s_waitcnt lgkmcnt(0)
	v_lshrrev_b32_e32 v6, 16, v1
	v_add_co_u32_e32 v3, vcc, s8, v3
	s_waitcnt vmcnt(0)
	v_mul_f16_sdwa v7, v6, v5 dst_sel:DWORD dst_unused:UNUSED_PAD src0_sel:DWORD src1_sel:WORD_1
	v_fma_f16 v7, v1, v5, v7
	v_mul_f16_sdwa v1, v1, v5 dst_sel:DWORD dst_unused:UNUSED_PAD src0_sel:DWORD src1_sel:WORD_1
	v_cvt_f32_f16_e32 v7, v7
	v_fma_f16 v1, v5, v6, -v1
	v_cvt_f32_f16_e32 v1, v1
	v_cvt_f64_f32_e32 v[5:6], v7
	v_cvt_f64_f32_e32 v[7:8], v1
	v_mov_b32_e32 v1, s9
	v_mul_f64 v[5:6], v[5:6], s[14:15]
	v_addc_co_u32_e32 v4, vcc, v4, v1, vcc
	v_mul_f64 v[7:8], v[7:8], s[14:15]
	v_and_or_b32 v1, v6, s16, v5
	v_cmp_ne_u32_e32 vcc, 0, v1
	v_lshrrev_b32_e32 v5, 8, v6
	v_and_or_b32 v7, v8, s16, v7
	v_bfe_u32 v9, v6, 20, 11
	v_cndmask_b32_e64 v1, 0, 1, vcc
	v_cmp_ne_u32_e32 vcc, 0, v7
	v_lshrrev_b32_e32 v10, 8, v8
	v_bfe_u32 v11, v8, 20, 11
	v_sub_u32_e32 v12, 0x3f1, v9
	v_cndmask_b32_e64 v7, 0, 1, vcc
	v_and_or_b32 v1, v5, s10, v1
	v_sub_u32_e32 v13, 0x3f1, v11
	v_med3_i32 v5, v12, 0, 13
	v_and_or_b32 v7, v10, s10, v7
	v_or_b32_e32 v12, 0x1000, v1
	v_add_u32_e32 v9, 0xfffffc10, v9
	v_med3_i32 v10, v13, 0, 13
	v_cmp_ne_u32_e32 vcc, 0, v1
	v_or_b32_e32 v14, 0x1000, v7
	v_lshrrev_b32_e32 v16, v5, v12
	v_add_u32_e32 v11, 0xfffffc10, v11
	v_lshl_or_b32 v13, v9, 12, v1
	v_cndmask_b32_e64 v1, 0, 1, vcc
	v_cmp_ne_u32_e32 vcc, 0, v7
	v_lshrrev_b32_e32 v17, v10, v14
	v_lshlrev_b32_e32 v5, v5, v16
	v_lshl_or_b32 v15, v11, 12, v7
	v_cndmask_b32_e64 v7, 0, 1, vcc
	v_lshlrev_b32_e32 v10, v10, v17
	v_cmp_ne_u32_e32 vcc, v5, v12
	v_cndmask_b32_e64 v5, 0, 1, vcc
	v_cmp_ne_u32_e32 vcc, v10, v14
	v_cndmask_b32_e64 v10, 0, 1, vcc
	v_or_b32_e32 v5, v16, v5
	v_cmp_gt_i32_e32 vcc, 1, v9
	v_cndmask_b32_e32 v5, v13, v5, vcc
	v_or_b32_e32 v10, v17, v10
	v_cmp_gt_i32_e32 vcc, 1, v11
	v_and_b32_e32 v12, 7, v5
	v_cndmask_b32_e32 v10, v15, v10, vcc
	v_cmp_lt_i32_e32 vcc, 5, v12
	v_cmp_eq_u32_e64 s[0:1], 3, v12
	v_lshrrev_b32_e32 v5, 2, v5
	v_and_b32_e32 v13, 7, v10
	s_or_b64 vcc, s[0:1], vcc
	v_cmp_lt_i32_e64 s[2:3], 5, v13
	v_cmp_eq_u32_e64 s[4:5], 3, v13
	v_addc_co_u32_e32 v5, vcc, 0, v5, vcc
	v_lshrrev_b32_e32 v10, 2, v10
	s_or_b64 vcc, s[4:5], s[2:3]
	v_addc_co_u32_e32 v10, vcc, 0, v10, vcc
	v_cmp_gt_i32_e32 vcc, 31, v9
	v_cndmask_b32_e32 v5, v0, v5, vcc
	v_cmp_gt_i32_e32 vcc, 31, v11
	v_lshl_or_b32 v1, v1, 9, v0
	v_cndmask_b32_e32 v10, v0, v10, vcc
	v_cmp_eq_u32_e32 vcc, s18, v9
	v_lshrrev_b32_e32 v6, 16, v6
	v_lshl_or_b32 v7, v7, 9, v0
	v_cndmask_b32_e32 v1, v5, v1, vcc
	v_cmp_eq_u32_e32 vcc, s18, v11
	v_lshrrev_b32_e32 v8, 16, v8
	v_cndmask_b32_e32 v5, v10, v7, vcc
	v_and_or_b32 v1, v6, s17, v1
	v_and_or_b32 v5, v8, s17, v5
	v_and_b32_e32 v1, 0xffff, v1
	v_lshl_or_b32 v1, v5, 16, v1
	global_store_dword v[3:4], v1, off
	global_load_dword v1, v41, s[6:7] offset:312
	v_lshrrev_b32_e32 v5, 16, v2
	v_mov_b32_e32 v7, s9
	v_add_co_u32_e32 v3, vcc, s8, v3
	v_addc_co_u32_e32 v4, vcc, v4, v7, vcc
	s_waitcnt vmcnt(0)
	v_mul_f16_sdwa v6, v5, v1 dst_sel:DWORD dst_unused:UNUSED_PAD src0_sel:DWORD src1_sel:WORD_1
	v_fma_f16 v6, v2, v1, v6
	v_mul_f16_sdwa v2, v2, v1 dst_sel:DWORD dst_unused:UNUSED_PAD src0_sel:DWORD src1_sel:WORD_1
	v_cvt_f32_f16_e32 v6, v6
	v_fma_f16 v1, v1, v5, -v2
	v_cvt_f32_f16_e32 v5, v1
	v_cvt_f64_f32_e32 v[1:2], v6
	v_cvt_f64_f32_e32 v[5:6], v5
	v_mul_f64 v[1:2], v[1:2], s[14:15]
	v_mul_f64 v[5:6], v[5:6], s[14:15]
	v_and_or_b32 v1, v2, s16, v1
	v_cmp_ne_u32_e32 vcc, 0, v1
	v_and_or_b32 v5, v6, s16, v5
	v_lshrrev_b32_e32 v7, 8, v2
	v_bfe_u32 v8, v2, 20, 11
	v_cndmask_b32_e64 v1, 0, 1, vcc
	v_cmp_ne_u32_e32 vcc, 0, v5
	v_lshrrev_b32_e32 v9, 8, v6
	v_bfe_u32 v10, v6, 20, 11
	v_sub_u32_e32 v11, 0x3f1, v8
	v_cndmask_b32_e64 v5, 0, 1, vcc
	v_and_or_b32 v1, v7, s10, v1
	v_sub_u32_e32 v12, 0x3f1, v10
	v_med3_i32 v7, v11, 0, 13
	v_and_or_b32 v5, v9, s10, v5
	v_or_b32_e32 v11, 0x1000, v1
	v_add_u32_e32 v8, 0xfffffc10, v8
	v_med3_i32 v9, v12, 0, 13
	v_cmp_ne_u32_e32 vcc, 0, v1
	v_or_b32_e32 v13, 0x1000, v5
	v_lshrrev_b32_e32 v15, v7, v11
	v_add_u32_e32 v10, 0xfffffc10, v10
	v_lshl_or_b32 v12, v8, 12, v1
	v_cndmask_b32_e64 v1, 0, 1, vcc
	v_cmp_ne_u32_e32 vcc, 0, v5
	v_lshrrev_b32_e32 v16, v9, v13
	v_lshlrev_b32_e32 v7, v7, v15
	v_lshl_or_b32 v14, v10, 12, v5
	v_cndmask_b32_e64 v5, 0, 1, vcc
	v_lshlrev_b32_e32 v9, v9, v16
	v_cmp_ne_u32_e32 vcc, v7, v11
	v_cndmask_b32_e64 v7, 0, 1, vcc
	v_cmp_ne_u32_e32 vcc, v9, v13
	v_cndmask_b32_e64 v9, 0, 1, vcc
	v_or_b32_e32 v7, v15, v7
	v_cmp_gt_i32_e32 vcc, 1, v8
	v_cndmask_b32_e32 v7, v12, v7, vcc
	v_or_b32_e32 v9, v16, v9
	v_cmp_gt_i32_e32 vcc, 1, v10
	v_and_b32_e32 v11, 7, v7
	v_cndmask_b32_e32 v9, v14, v9, vcc
	v_cmp_lt_i32_e32 vcc, 5, v11
	v_cmp_eq_u32_e64 s[0:1], 3, v11
	v_lshrrev_b32_e32 v7, 2, v7
	v_and_b32_e32 v12, 7, v9
	s_or_b64 vcc, s[0:1], vcc
	v_cmp_lt_i32_e64 s[2:3], 5, v12
	v_cmp_eq_u32_e64 s[4:5], 3, v12
	v_addc_co_u32_e32 v7, vcc, 0, v7, vcc
	v_lshrrev_b32_e32 v9, 2, v9
	s_or_b64 vcc, s[4:5], s[2:3]
	v_addc_co_u32_e32 v9, vcc, 0, v9, vcc
	v_cmp_gt_i32_e32 vcc, 31, v8
	v_cndmask_b32_e32 v7, v0, v7, vcc
	v_cmp_gt_i32_e32 vcc, 31, v10
	v_lshl_or_b32 v1, v1, 9, v0
	v_cndmask_b32_e32 v9, v0, v9, vcc
	v_cmp_eq_u32_e32 vcc, s18, v8
	v_lshrrev_b32_e32 v2, 16, v2
	v_lshl_or_b32 v5, v5, 9, v0
	v_cndmask_b32_e32 v1, v7, v1, vcc
	v_cmp_eq_u32_e32 vcc, s18, v10
	v_lshrrev_b32_e32 v6, 16, v6
	v_cndmask_b32_e32 v5, v9, v5, vcc
	v_and_or_b32 v1, v2, s17, v1
	v_and_or_b32 v2, v6, s17, v5
	v_and_b32_e32 v1, 0xffff, v1
	v_lshl_or_b32 v1, v2, 16, v1
	global_store_dword v[3:4], v1, off
	global_load_dword v5, v41, s[6:7] offset:468
	ds_read2_b32 v[1:2], v41 offset0:117 offset1:156
	v_add_co_u32_e32 v3, vcc, s8, v3
	s_waitcnt lgkmcnt(0)
	v_lshrrev_b32_e32 v6, 16, v1
	s_waitcnt vmcnt(0)
	v_mul_f16_sdwa v7, v6, v5 dst_sel:DWORD dst_unused:UNUSED_PAD src0_sel:DWORD src1_sel:WORD_1
	v_fma_f16 v7, v1, v5, v7
	v_mul_f16_sdwa v1, v1, v5 dst_sel:DWORD dst_unused:UNUSED_PAD src0_sel:DWORD src1_sel:WORD_1
	v_cvt_f32_f16_e32 v7, v7
	v_fma_f16 v1, v5, v6, -v1
	v_cvt_f32_f16_e32 v1, v1
	v_cvt_f64_f32_e32 v[5:6], v7
	v_cvt_f64_f32_e32 v[7:8], v1
	v_mov_b32_e32 v1, s9
	v_mul_f64 v[5:6], v[5:6], s[14:15]
	v_addc_co_u32_e32 v4, vcc, v4, v1, vcc
	v_mul_f64 v[7:8], v[7:8], s[14:15]
	v_and_or_b32 v1, v6, s16, v5
	v_cmp_ne_u32_e32 vcc, 0, v1
	v_lshrrev_b32_e32 v5, 8, v6
	v_and_or_b32 v7, v8, s16, v7
	v_bfe_u32 v9, v6, 20, 11
	v_cndmask_b32_e64 v1, 0, 1, vcc
	v_cmp_ne_u32_e32 vcc, 0, v7
	v_lshrrev_b32_e32 v10, 8, v8
	v_bfe_u32 v11, v8, 20, 11
	v_sub_u32_e32 v12, 0x3f1, v9
	v_cndmask_b32_e64 v7, 0, 1, vcc
	v_and_or_b32 v1, v5, s10, v1
	v_sub_u32_e32 v13, 0x3f1, v11
	v_med3_i32 v5, v12, 0, 13
	v_and_or_b32 v7, v10, s10, v7
	v_or_b32_e32 v12, 0x1000, v1
	v_add_u32_e32 v9, 0xfffffc10, v9
	v_med3_i32 v10, v13, 0, 13
	v_cmp_ne_u32_e32 vcc, 0, v1
	v_or_b32_e32 v14, 0x1000, v7
	v_lshrrev_b32_e32 v16, v5, v12
	v_add_u32_e32 v11, 0xfffffc10, v11
	v_lshl_or_b32 v13, v9, 12, v1
	v_cndmask_b32_e64 v1, 0, 1, vcc
	v_cmp_ne_u32_e32 vcc, 0, v7
	v_lshrrev_b32_e32 v17, v10, v14
	v_lshlrev_b32_e32 v5, v5, v16
	v_lshl_or_b32 v15, v11, 12, v7
	v_cndmask_b32_e64 v7, 0, 1, vcc
	v_lshlrev_b32_e32 v10, v10, v17
	v_cmp_ne_u32_e32 vcc, v5, v12
	v_cndmask_b32_e64 v5, 0, 1, vcc
	v_cmp_ne_u32_e32 vcc, v10, v14
	v_cndmask_b32_e64 v10, 0, 1, vcc
	v_or_b32_e32 v5, v16, v5
	v_cmp_gt_i32_e32 vcc, 1, v9
	v_cndmask_b32_e32 v5, v13, v5, vcc
	v_or_b32_e32 v10, v17, v10
	v_cmp_gt_i32_e32 vcc, 1, v11
	v_and_b32_e32 v12, 7, v5
	v_cndmask_b32_e32 v10, v15, v10, vcc
	v_cmp_lt_i32_e32 vcc, 5, v12
	v_cmp_eq_u32_e64 s[0:1], 3, v12
	v_lshrrev_b32_e32 v5, 2, v5
	v_and_b32_e32 v13, 7, v10
	s_or_b64 vcc, s[0:1], vcc
	v_cmp_lt_i32_e64 s[2:3], 5, v13
	v_cmp_eq_u32_e64 s[4:5], 3, v13
	v_addc_co_u32_e32 v5, vcc, 0, v5, vcc
	v_lshrrev_b32_e32 v10, 2, v10
	s_or_b64 vcc, s[4:5], s[2:3]
	v_addc_co_u32_e32 v10, vcc, 0, v10, vcc
	v_cmp_gt_i32_e32 vcc, 31, v9
	v_cndmask_b32_e32 v5, v0, v5, vcc
	v_cmp_gt_i32_e32 vcc, 31, v11
	v_lshl_or_b32 v1, v1, 9, v0
	v_cndmask_b32_e32 v10, v0, v10, vcc
	v_cmp_eq_u32_e32 vcc, s18, v9
	v_lshrrev_b32_e32 v6, 16, v6
	v_lshl_or_b32 v7, v7, 9, v0
	v_cndmask_b32_e32 v1, v5, v1, vcc
	v_cmp_eq_u32_e32 vcc, s18, v11
	v_lshrrev_b32_e32 v8, 16, v8
	v_cndmask_b32_e32 v5, v10, v7, vcc
	v_and_or_b32 v1, v6, s17, v1
	v_and_or_b32 v5, v8, s17, v5
	v_and_b32_e32 v1, 0xffff, v1
	v_lshl_or_b32 v1, v5, 16, v1
	global_store_dword v[3:4], v1, off
	global_load_dword v1, v41, s[6:7] offset:624
	v_lshrrev_b32_e32 v5, 16, v2
	v_mov_b32_e32 v7, s9
	v_add_co_u32_e32 v3, vcc, s8, v3
	v_addc_co_u32_e32 v4, vcc, v4, v7, vcc
	s_waitcnt vmcnt(0)
	v_mul_f16_sdwa v6, v5, v1 dst_sel:DWORD dst_unused:UNUSED_PAD src0_sel:DWORD src1_sel:WORD_1
	v_fma_f16 v6, v2, v1, v6
	v_mul_f16_sdwa v2, v2, v1 dst_sel:DWORD dst_unused:UNUSED_PAD src0_sel:DWORD src1_sel:WORD_1
	v_cvt_f32_f16_e32 v6, v6
	v_fma_f16 v1, v1, v5, -v2
	v_cvt_f32_f16_e32 v5, v1
	v_cvt_f64_f32_e32 v[1:2], v6
	v_cvt_f64_f32_e32 v[5:6], v5
	v_mul_f64 v[1:2], v[1:2], s[14:15]
	v_mul_f64 v[5:6], v[5:6], s[14:15]
	v_and_or_b32 v1, v2, s16, v1
	v_cmp_ne_u32_e32 vcc, 0, v1
	v_and_or_b32 v5, v6, s16, v5
	v_lshrrev_b32_e32 v7, 8, v2
	v_bfe_u32 v8, v2, 20, 11
	v_cndmask_b32_e64 v1, 0, 1, vcc
	v_cmp_ne_u32_e32 vcc, 0, v5
	v_lshrrev_b32_e32 v9, 8, v6
	v_bfe_u32 v10, v6, 20, 11
	v_sub_u32_e32 v11, 0x3f1, v8
	v_cndmask_b32_e64 v5, 0, 1, vcc
	v_and_or_b32 v1, v7, s10, v1
	v_sub_u32_e32 v12, 0x3f1, v10
	v_med3_i32 v7, v11, 0, 13
	v_and_or_b32 v5, v9, s10, v5
	v_or_b32_e32 v11, 0x1000, v1
	v_add_u32_e32 v8, 0xfffffc10, v8
	v_med3_i32 v9, v12, 0, 13
	v_cmp_ne_u32_e32 vcc, 0, v1
	v_or_b32_e32 v13, 0x1000, v5
	v_lshrrev_b32_e32 v15, v7, v11
	v_add_u32_e32 v10, 0xfffffc10, v10
	v_lshl_or_b32 v12, v8, 12, v1
	v_cndmask_b32_e64 v1, 0, 1, vcc
	v_cmp_ne_u32_e32 vcc, 0, v5
	v_lshrrev_b32_e32 v16, v9, v13
	v_lshlrev_b32_e32 v7, v7, v15
	v_lshl_or_b32 v14, v10, 12, v5
	v_cndmask_b32_e64 v5, 0, 1, vcc
	v_lshlrev_b32_e32 v9, v9, v16
	v_cmp_ne_u32_e32 vcc, v7, v11
	v_cndmask_b32_e64 v7, 0, 1, vcc
	v_cmp_ne_u32_e32 vcc, v9, v13
	v_cndmask_b32_e64 v9, 0, 1, vcc
	v_or_b32_e32 v7, v15, v7
	v_cmp_gt_i32_e32 vcc, 1, v8
	v_cndmask_b32_e32 v7, v12, v7, vcc
	v_or_b32_e32 v9, v16, v9
	v_cmp_gt_i32_e32 vcc, 1, v10
	v_and_b32_e32 v11, 7, v7
	v_cndmask_b32_e32 v9, v14, v9, vcc
	v_cmp_lt_i32_e32 vcc, 5, v11
	v_cmp_eq_u32_e64 s[0:1], 3, v11
	v_lshrrev_b32_e32 v7, 2, v7
	v_and_b32_e32 v12, 7, v9
	s_or_b64 vcc, s[0:1], vcc
	v_cmp_lt_i32_e64 s[2:3], 5, v12
	v_cmp_eq_u32_e64 s[4:5], 3, v12
	v_addc_co_u32_e32 v7, vcc, 0, v7, vcc
	v_lshrrev_b32_e32 v9, 2, v9
	s_or_b64 vcc, s[4:5], s[2:3]
	v_addc_co_u32_e32 v9, vcc, 0, v9, vcc
	v_cmp_gt_i32_e32 vcc, 31, v8
	v_cndmask_b32_e32 v7, v0, v7, vcc
	v_cmp_gt_i32_e32 vcc, 31, v10
	v_lshl_or_b32 v1, v1, 9, v0
	v_cndmask_b32_e32 v9, v0, v9, vcc
	v_cmp_eq_u32_e32 vcc, s18, v8
	v_lshrrev_b32_e32 v2, 16, v2
	v_lshl_or_b32 v5, v5, 9, v0
	v_cndmask_b32_e32 v1, v7, v1, vcc
	v_cmp_eq_u32_e32 vcc, s18, v10
	v_lshrrev_b32_e32 v6, 16, v6
	v_cndmask_b32_e32 v5, v9, v5, vcc
	v_and_or_b32 v1, v2, s17, v1
	v_and_or_b32 v2, v6, s17, v5
	v_and_b32_e32 v1, 0xffff, v1
	v_lshl_or_b32 v1, v2, 16, v1
	global_store_dword v[3:4], v1, off
	global_load_dword v5, v41, s[6:7] offset:780
	ds_read2_b32 v[1:2], v41 offset0:195 offset1:234
	v_add_co_u32_e32 v3, vcc, s8, v3
	s_waitcnt lgkmcnt(0)
	v_lshrrev_b32_e32 v6, 16, v1
	s_waitcnt vmcnt(0)
	v_mul_f16_sdwa v7, v6, v5 dst_sel:DWORD dst_unused:UNUSED_PAD src0_sel:DWORD src1_sel:WORD_1
	v_fma_f16 v7, v1, v5, v7
	v_mul_f16_sdwa v1, v1, v5 dst_sel:DWORD dst_unused:UNUSED_PAD src0_sel:DWORD src1_sel:WORD_1
	v_cvt_f32_f16_e32 v7, v7
	v_fma_f16 v1, v5, v6, -v1
	v_cvt_f32_f16_e32 v1, v1
	v_cvt_f64_f32_e32 v[5:6], v7
	v_cvt_f64_f32_e32 v[7:8], v1
	v_mov_b32_e32 v1, s9
	v_mul_f64 v[5:6], v[5:6], s[14:15]
	v_addc_co_u32_e32 v4, vcc, v4, v1, vcc
	v_mul_f64 v[7:8], v[7:8], s[14:15]
	v_and_or_b32 v1, v6, s16, v5
	v_cmp_ne_u32_e32 vcc, 0, v1
	v_lshrrev_b32_e32 v5, 8, v6
	v_and_or_b32 v7, v8, s16, v7
	v_bfe_u32 v9, v6, 20, 11
	v_cndmask_b32_e64 v1, 0, 1, vcc
	v_cmp_ne_u32_e32 vcc, 0, v7
	v_lshrrev_b32_e32 v10, 8, v8
	v_bfe_u32 v11, v8, 20, 11
	v_sub_u32_e32 v12, 0x3f1, v9
	v_cndmask_b32_e64 v7, 0, 1, vcc
	v_and_or_b32 v1, v5, s10, v1
	v_sub_u32_e32 v13, 0x3f1, v11
	v_med3_i32 v5, v12, 0, 13
	v_and_or_b32 v7, v10, s10, v7
	v_or_b32_e32 v12, 0x1000, v1
	v_add_u32_e32 v9, 0xfffffc10, v9
	v_med3_i32 v10, v13, 0, 13
	v_cmp_ne_u32_e32 vcc, 0, v1
	v_or_b32_e32 v14, 0x1000, v7
	v_lshrrev_b32_e32 v16, v5, v12
	v_add_u32_e32 v11, 0xfffffc10, v11
	v_lshl_or_b32 v13, v9, 12, v1
	v_cndmask_b32_e64 v1, 0, 1, vcc
	v_cmp_ne_u32_e32 vcc, 0, v7
	v_lshrrev_b32_e32 v17, v10, v14
	v_lshlrev_b32_e32 v5, v5, v16
	v_lshl_or_b32 v15, v11, 12, v7
	v_cndmask_b32_e64 v7, 0, 1, vcc
	v_lshlrev_b32_e32 v10, v10, v17
	v_cmp_ne_u32_e32 vcc, v5, v12
	v_cndmask_b32_e64 v5, 0, 1, vcc
	v_cmp_ne_u32_e32 vcc, v10, v14
	v_cndmask_b32_e64 v10, 0, 1, vcc
	v_or_b32_e32 v5, v16, v5
	v_cmp_gt_i32_e32 vcc, 1, v9
	v_cndmask_b32_e32 v5, v13, v5, vcc
	v_or_b32_e32 v10, v17, v10
	v_cmp_gt_i32_e32 vcc, 1, v11
	v_and_b32_e32 v12, 7, v5
	v_cndmask_b32_e32 v10, v15, v10, vcc
	v_cmp_lt_i32_e32 vcc, 5, v12
	v_cmp_eq_u32_e64 s[0:1], 3, v12
	v_lshrrev_b32_e32 v5, 2, v5
	v_and_b32_e32 v13, 7, v10
	s_or_b64 vcc, s[0:1], vcc
	v_cmp_lt_i32_e64 s[2:3], 5, v13
	v_cmp_eq_u32_e64 s[4:5], 3, v13
	v_addc_co_u32_e32 v5, vcc, 0, v5, vcc
	v_lshrrev_b32_e32 v10, 2, v10
	s_or_b64 vcc, s[4:5], s[2:3]
	v_addc_co_u32_e32 v10, vcc, 0, v10, vcc
	v_cmp_gt_i32_e32 vcc, 31, v9
	v_cndmask_b32_e32 v5, v0, v5, vcc
	v_cmp_gt_i32_e32 vcc, 31, v11
	v_lshl_or_b32 v1, v1, 9, v0
	v_cndmask_b32_e32 v10, v0, v10, vcc
	v_cmp_eq_u32_e32 vcc, s18, v9
	v_lshrrev_b32_e32 v6, 16, v6
	v_lshl_or_b32 v7, v7, 9, v0
	v_cndmask_b32_e32 v1, v5, v1, vcc
	v_cmp_eq_u32_e32 vcc, s18, v11
	v_lshrrev_b32_e32 v8, 16, v8
	v_cndmask_b32_e32 v5, v10, v7, vcc
	v_and_or_b32 v1, v6, s17, v1
	v_and_or_b32 v5, v8, s17, v5
	v_and_b32_e32 v1, 0xffff, v1
	v_lshl_or_b32 v1, v5, 16, v1
	global_store_dword v[3:4], v1, off
	global_load_dword v1, v41, s[6:7] offset:936
	v_lshrrev_b32_e32 v5, 16, v2
	v_mov_b32_e32 v7, s9
	v_add_co_u32_e32 v3, vcc, s8, v3
	v_addc_co_u32_e32 v4, vcc, v4, v7, vcc
	s_waitcnt vmcnt(0)
	v_mul_f16_sdwa v6, v5, v1 dst_sel:DWORD dst_unused:UNUSED_PAD src0_sel:DWORD src1_sel:WORD_1
	v_fma_f16 v6, v2, v1, v6
	v_mul_f16_sdwa v2, v2, v1 dst_sel:DWORD dst_unused:UNUSED_PAD src0_sel:DWORD src1_sel:WORD_1
	v_cvt_f32_f16_e32 v6, v6
	v_fma_f16 v1, v1, v5, -v2
	v_cvt_f32_f16_e32 v5, v1
	v_cvt_f64_f32_e32 v[1:2], v6
	v_cvt_f64_f32_e32 v[5:6], v5
	v_mul_f64 v[1:2], v[1:2], s[14:15]
	v_mul_f64 v[5:6], v[5:6], s[14:15]
	v_and_or_b32 v1, v2, s16, v1
	v_cmp_ne_u32_e32 vcc, 0, v1
	v_and_or_b32 v5, v6, s16, v5
	v_lshrrev_b32_e32 v7, 8, v2
	v_bfe_u32 v8, v2, 20, 11
	v_cndmask_b32_e64 v1, 0, 1, vcc
	v_cmp_ne_u32_e32 vcc, 0, v5
	v_lshrrev_b32_e32 v9, 8, v6
	v_bfe_u32 v10, v6, 20, 11
	v_sub_u32_e32 v11, 0x3f1, v8
	v_cndmask_b32_e64 v5, 0, 1, vcc
	v_and_or_b32 v1, v7, s10, v1
	v_sub_u32_e32 v12, 0x3f1, v10
	v_med3_i32 v7, v11, 0, 13
	v_and_or_b32 v5, v9, s10, v5
	v_or_b32_e32 v11, 0x1000, v1
	v_add_u32_e32 v8, 0xfffffc10, v8
	v_med3_i32 v9, v12, 0, 13
	v_cmp_ne_u32_e32 vcc, 0, v1
	v_or_b32_e32 v13, 0x1000, v5
	v_lshrrev_b32_e32 v15, v7, v11
	v_add_u32_e32 v10, 0xfffffc10, v10
	v_lshl_or_b32 v12, v8, 12, v1
	v_cndmask_b32_e64 v1, 0, 1, vcc
	v_cmp_ne_u32_e32 vcc, 0, v5
	v_lshrrev_b32_e32 v16, v9, v13
	v_lshlrev_b32_e32 v7, v7, v15
	v_lshl_or_b32 v14, v10, 12, v5
	v_cndmask_b32_e64 v5, 0, 1, vcc
	v_lshlrev_b32_e32 v9, v9, v16
	v_cmp_ne_u32_e32 vcc, v7, v11
	v_cndmask_b32_e64 v7, 0, 1, vcc
	v_cmp_ne_u32_e32 vcc, v9, v13
	v_cndmask_b32_e64 v9, 0, 1, vcc
	v_or_b32_e32 v7, v15, v7
	v_cmp_gt_i32_e32 vcc, 1, v8
	v_cndmask_b32_e32 v7, v12, v7, vcc
	v_or_b32_e32 v9, v16, v9
	v_cmp_gt_i32_e32 vcc, 1, v10
	v_and_b32_e32 v11, 7, v7
	v_cndmask_b32_e32 v9, v14, v9, vcc
	v_cmp_lt_i32_e32 vcc, 5, v11
	v_cmp_eq_u32_e64 s[0:1], 3, v11
	v_lshrrev_b32_e32 v7, 2, v7
	v_and_b32_e32 v12, 7, v9
	s_or_b64 vcc, s[0:1], vcc
	v_cmp_lt_i32_e64 s[2:3], 5, v12
	v_cmp_eq_u32_e64 s[4:5], 3, v12
	v_addc_co_u32_e32 v7, vcc, 0, v7, vcc
	v_lshrrev_b32_e32 v9, 2, v9
	s_or_b64 vcc, s[4:5], s[2:3]
	v_addc_co_u32_e32 v9, vcc, 0, v9, vcc
	v_cmp_gt_i32_e32 vcc, 31, v8
	v_cndmask_b32_e32 v7, v0, v7, vcc
	v_cmp_gt_i32_e32 vcc, 31, v10
	v_lshl_or_b32 v1, v1, 9, v0
	v_cndmask_b32_e32 v9, v0, v9, vcc
	v_cmp_eq_u32_e32 vcc, s18, v8
	v_lshrrev_b32_e32 v2, 16, v2
	v_lshl_or_b32 v5, v5, 9, v0
	v_cndmask_b32_e32 v1, v7, v1, vcc
	v_cmp_eq_u32_e32 vcc, s18, v10
	v_lshrrev_b32_e32 v6, 16, v6
	v_cndmask_b32_e32 v5, v9, v5, vcc
	v_and_or_b32 v1, v2, s17, v1
	v_and_or_b32 v2, v6, s17, v5
	v_and_b32_e32 v1, 0xffff, v1
	v_lshl_or_b32 v1, v2, 16, v1
	global_store_dword v[3:4], v1, off
	global_load_dword v2, v41, s[6:7] offset:1092
	v_add_u32_e32 v1, 0x400, v41
	ds_read2_b32 v[5:6], v1 offset0:17 offset1:56
	s_waitcnt lgkmcnt(0)
	v_lshrrev_b32_e32 v7, 16, v5
	s_waitcnt vmcnt(0)
	v_mul_f16_sdwa v8, v7, v2 dst_sel:DWORD dst_unused:UNUSED_PAD src0_sel:DWORD src1_sel:WORD_1
	v_fma_f16 v8, v5, v2, v8
	v_mul_f16_sdwa v5, v5, v2 dst_sel:DWORD dst_unused:UNUSED_PAD src0_sel:DWORD src1_sel:WORD_1
	v_cvt_f32_f16_e32 v8, v8
	v_fma_f16 v2, v2, v7, -v5
	v_cvt_f32_f16_e32 v2, v2
	v_mov_b32_e32 v5, s9
	v_cvt_f64_f32_e32 v[7:8], v8
	v_cvt_f64_f32_e32 v[9:10], v2
	v_add_co_u32_e32 v2, vcc, s8, v3
	v_mul_f64 v[7:8], v[7:8], s[14:15]
	v_mul_f64 v[9:10], v[9:10], s[14:15]
	v_addc_co_u32_e32 v3, vcc, v4, v5, vcc
	v_and_or_b32 v4, v8, s16, v7
	v_and_or_b32 v9, v10, s16, v9
	v_cmp_ne_u32_e32 vcc, 0, v4
	v_lshrrev_b32_e32 v5, 8, v8
	v_bfe_u32 v7, v8, 20, 11
	v_cndmask_b32_e64 v4, 0, 1, vcc
	v_cmp_ne_u32_e32 vcc, 0, v9
	v_lshrrev_b32_e32 v11, 8, v10
	v_bfe_u32 v12, v10, 20, 11
	v_sub_u32_e32 v13, 0x3f1, v7
	v_cndmask_b32_e64 v9, 0, 1, vcc
	v_and_or_b32 v4, v5, s10, v4
	v_sub_u32_e32 v14, 0x3f1, v12
	v_med3_i32 v5, v13, 0, 13
	v_and_or_b32 v9, v11, s10, v9
	v_or_b32_e32 v13, 0x1000, v4
	v_add_u32_e32 v7, 0xfffffc10, v7
	v_med3_i32 v11, v14, 0, 13
	v_cmp_ne_u32_e32 vcc, 0, v4
	v_or_b32_e32 v15, 0x1000, v9
	v_lshrrev_b32_e32 v17, v5, v13
	v_add_u32_e32 v12, 0xfffffc10, v12
	v_lshl_or_b32 v14, v7, 12, v4
	v_cndmask_b32_e64 v4, 0, 1, vcc
	v_cmp_ne_u32_e32 vcc, 0, v9
	v_lshrrev_b32_e32 v18, v11, v15
	v_lshlrev_b32_e32 v5, v5, v17
	v_lshl_or_b32 v16, v12, 12, v9
	v_cndmask_b32_e64 v9, 0, 1, vcc
	v_lshlrev_b32_e32 v11, v11, v18
	v_cmp_ne_u32_e32 vcc, v5, v13
	v_cndmask_b32_e64 v5, 0, 1, vcc
	v_cmp_ne_u32_e32 vcc, v11, v15
	v_cndmask_b32_e64 v11, 0, 1, vcc
	v_or_b32_e32 v5, v17, v5
	v_cmp_gt_i32_e32 vcc, 1, v7
	v_cndmask_b32_e32 v5, v14, v5, vcc
	v_or_b32_e32 v11, v18, v11
	v_cmp_gt_i32_e32 vcc, 1, v12
	v_and_b32_e32 v13, 7, v5
	v_cndmask_b32_e32 v11, v16, v11, vcc
	v_cmp_lt_i32_e32 vcc, 5, v13
	v_cmp_eq_u32_e64 s[0:1], 3, v13
	v_lshrrev_b32_e32 v5, 2, v5
	v_and_b32_e32 v14, 7, v11
	s_or_b64 vcc, s[0:1], vcc
	v_cmp_lt_i32_e64 s[2:3], 5, v14
	v_cmp_eq_u32_e64 s[4:5], 3, v14
	v_addc_co_u32_e32 v5, vcc, 0, v5, vcc
	v_lshrrev_b32_e32 v11, 2, v11
	s_or_b64 vcc, s[4:5], s[2:3]
	v_addc_co_u32_e32 v11, vcc, 0, v11, vcc
	v_cmp_gt_i32_e32 vcc, 31, v7
	v_cndmask_b32_e32 v5, v0, v5, vcc
	v_cmp_gt_i32_e32 vcc, 31, v12
	v_lshl_or_b32 v4, v4, 9, v0
	v_cndmask_b32_e32 v11, v0, v11, vcc
	v_cmp_eq_u32_e32 vcc, s18, v7
	v_lshrrev_b32_e32 v8, 16, v8
	v_lshl_or_b32 v9, v9, 9, v0
	v_cndmask_b32_e32 v4, v5, v4, vcc
	v_cmp_eq_u32_e32 vcc, s18, v12
	v_lshrrev_b32_e32 v10, 16, v10
	v_cndmask_b32_e32 v5, v11, v9, vcc
	v_and_or_b32 v4, v8, s17, v4
	v_and_or_b32 v5, v10, s17, v5
	v_and_b32_e32 v4, 0xffff, v4
	v_lshl_or_b32 v4, v5, 16, v4
	global_store_dword v[2:3], v4, off
	global_load_dword v4, v41, s[6:7] offset:1248
	v_lshrrev_b32_e32 v5, 16, v6
	v_mov_b32_e32 v8, s9
	v_add_co_u32_e32 v2, vcc, s8, v2
	v_addc_co_u32_e32 v3, vcc, v3, v8, vcc
	s_waitcnt vmcnt(0)
	v_mul_f16_sdwa v7, v5, v4 dst_sel:DWORD dst_unused:UNUSED_PAD src0_sel:DWORD src1_sel:WORD_1
	v_fma_f16 v7, v6, v4, v7
	v_mul_f16_sdwa v6, v6, v4 dst_sel:DWORD dst_unused:UNUSED_PAD src0_sel:DWORD src1_sel:WORD_1
	v_cvt_f32_f16_e32 v7, v7
	v_fma_f16 v4, v4, v5, -v6
	v_cvt_f32_f16_e32 v6, v4
	v_cvt_f64_f32_e32 v[4:5], v7
	v_cvt_f64_f32_e32 v[6:7], v6
	v_mul_f64 v[4:5], v[4:5], s[14:15]
	v_mul_f64 v[6:7], v[6:7], s[14:15]
	v_and_or_b32 v4, v5, s16, v4
	v_cmp_ne_u32_e32 vcc, 0, v4
	v_and_or_b32 v6, v7, s16, v6
	v_lshrrev_b32_e32 v8, 8, v5
	v_bfe_u32 v9, v5, 20, 11
	v_cndmask_b32_e64 v4, 0, 1, vcc
	v_cmp_ne_u32_e32 vcc, 0, v6
	v_lshrrev_b32_e32 v10, 8, v7
	v_bfe_u32 v11, v7, 20, 11
	v_sub_u32_e32 v12, 0x3f1, v9
	v_cndmask_b32_e64 v6, 0, 1, vcc
	v_and_or_b32 v4, v8, s10, v4
	v_sub_u32_e32 v13, 0x3f1, v11
	v_med3_i32 v8, v12, 0, 13
	v_and_or_b32 v6, v10, s10, v6
	v_or_b32_e32 v12, 0x1000, v4
	v_add_u32_e32 v9, 0xfffffc10, v9
	v_med3_i32 v10, v13, 0, 13
	v_cmp_ne_u32_e32 vcc, 0, v4
	v_or_b32_e32 v14, 0x1000, v6
	v_lshrrev_b32_e32 v16, v8, v12
	v_add_u32_e32 v11, 0xfffffc10, v11
	v_lshl_or_b32 v13, v9, 12, v4
	v_cndmask_b32_e64 v4, 0, 1, vcc
	v_cmp_ne_u32_e32 vcc, 0, v6
	v_lshrrev_b32_e32 v17, v10, v14
	v_lshlrev_b32_e32 v8, v8, v16
	v_lshl_or_b32 v15, v11, 12, v6
	v_cndmask_b32_e64 v6, 0, 1, vcc
	v_lshlrev_b32_e32 v10, v10, v17
	v_cmp_ne_u32_e32 vcc, v8, v12
	v_cndmask_b32_e64 v8, 0, 1, vcc
	v_cmp_ne_u32_e32 vcc, v10, v14
	v_cndmask_b32_e64 v10, 0, 1, vcc
	v_or_b32_e32 v8, v16, v8
	v_cmp_gt_i32_e32 vcc, 1, v9
	v_cndmask_b32_e32 v8, v13, v8, vcc
	v_or_b32_e32 v10, v17, v10
	v_cmp_gt_i32_e32 vcc, 1, v11
	v_and_b32_e32 v12, 7, v8
	v_cndmask_b32_e32 v10, v15, v10, vcc
	v_cmp_lt_i32_e32 vcc, 5, v12
	v_cmp_eq_u32_e64 s[0:1], 3, v12
	v_lshrrev_b32_e32 v8, 2, v8
	v_and_b32_e32 v13, 7, v10
	s_or_b64 vcc, s[0:1], vcc
	v_cmp_lt_i32_e64 s[2:3], 5, v13
	v_cmp_eq_u32_e64 s[4:5], 3, v13
	v_addc_co_u32_e32 v8, vcc, 0, v8, vcc
	v_lshrrev_b32_e32 v10, 2, v10
	s_or_b64 vcc, s[4:5], s[2:3]
	v_addc_co_u32_e32 v10, vcc, 0, v10, vcc
	v_cmp_gt_i32_e32 vcc, 31, v9
	v_cndmask_b32_e32 v8, v0, v8, vcc
	v_cmp_gt_i32_e32 vcc, 31, v11
	v_lshl_or_b32 v4, v4, 9, v0
	v_cndmask_b32_e32 v10, v0, v10, vcc
	v_cmp_eq_u32_e32 vcc, s18, v9
	v_lshrrev_b32_e32 v5, 16, v5
	v_lshl_or_b32 v6, v6, 9, v0
	v_cndmask_b32_e32 v4, v8, v4, vcc
	v_cmp_eq_u32_e32 vcc, s18, v11
	v_lshrrev_b32_e32 v7, 16, v7
	v_cndmask_b32_e32 v6, v10, v6, vcc
	v_and_or_b32 v4, v5, s17, v4
	v_and_or_b32 v5, v7, s17, v6
	v_and_b32_e32 v4, 0xffff, v4
	v_lshl_or_b32 v4, v5, 16, v4
	global_store_dword v[2:3], v4, off
	global_load_dword v6, v41, s[6:7] offset:1404
	ds_read2_b32 v[4:5], v1 offset0:95 offset1:134
	v_add_co_u32_e32 v2, vcc, s8, v2
	s_waitcnt lgkmcnt(0)
	v_lshrrev_b32_e32 v7, 16, v4
	s_waitcnt vmcnt(0)
	v_mul_f16_sdwa v8, v7, v6 dst_sel:DWORD dst_unused:UNUSED_PAD src0_sel:DWORD src1_sel:WORD_1
	v_fma_f16 v8, v4, v6, v8
	v_mul_f16_sdwa v4, v4, v6 dst_sel:DWORD dst_unused:UNUSED_PAD src0_sel:DWORD src1_sel:WORD_1
	v_cvt_f32_f16_e32 v8, v8
	v_fma_f16 v4, v6, v7, -v4
	v_cvt_f32_f16_e32 v4, v4
	v_cvt_f64_f32_e32 v[6:7], v8
	v_cvt_f64_f32_e32 v[8:9], v4
	v_mov_b32_e32 v4, s9
	v_mul_f64 v[6:7], v[6:7], s[14:15]
	v_addc_co_u32_e32 v3, vcc, v3, v4, vcc
	v_mul_f64 v[8:9], v[8:9], s[14:15]
	v_and_or_b32 v4, v7, s16, v6
	v_cmp_ne_u32_e32 vcc, 0, v4
	v_lshrrev_b32_e32 v6, 8, v7
	v_and_or_b32 v8, v9, s16, v8
	v_bfe_u32 v10, v7, 20, 11
	v_cndmask_b32_e64 v4, 0, 1, vcc
	v_cmp_ne_u32_e32 vcc, 0, v8
	v_lshrrev_b32_e32 v11, 8, v9
	v_bfe_u32 v12, v9, 20, 11
	v_sub_u32_e32 v13, 0x3f1, v10
	v_cndmask_b32_e64 v8, 0, 1, vcc
	v_and_or_b32 v4, v6, s10, v4
	v_sub_u32_e32 v14, 0x3f1, v12
	v_med3_i32 v6, v13, 0, 13
	v_and_or_b32 v8, v11, s10, v8
	v_or_b32_e32 v13, 0x1000, v4
	v_add_u32_e32 v10, 0xfffffc10, v10
	v_med3_i32 v11, v14, 0, 13
	v_cmp_ne_u32_e32 vcc, 0, v4
	v_or_b32_e32 v15, 0x1000, v8
	v_lshrrev_b32_e32 v17, v6, v13
	v_add_u32_e32 v12, 0xfffffc10, v12
	v_lshl_or_b32 v14, v10, 12, v4
	v_cndmask_b32_e64 v4, 0, 1, vcc
	v_cmp_ne_u32_e32 vcc, 0, v8
	v_lshrrev_b32_e32 v18, v11, v15
	v_lshlrev_b32_e32 v6, v6, v17
	v_lshl_or_b32 v16, v12, 12, v8
	v_cndmask_b32_e64 v8, 0, 1, vcc
	v_lshlrev_b32_e32 v11, v11, v18
	v_cmp_ne_u32_e32 vcc, v6, v13
	v_cndmask_b32_e64 v6, 0, 1, vcc
	v_cmp_ne_u32_e32 vcc, v11, v15
	v_cndmask_b32_e64 v11, 0, 1, vcc
	v_or_b32_e32 v6, v17, v6
	v_cmp_gt_i32_e32 vcc, 1, v10
	v_cndmask_b32_e32 v6, v14, v6, vcc
	v_or_b32_e32 v11, v18, v11
	v_cmp_gt_i32_e32 vcc, 1, v12
	v_and_b32_e32 v13, 7, v6
	v_cndmask_b32_e32 v11, v16, v11, vcc
	v_cmp_lt_i32_e32 vcc, 5, v13
	v_cmp_eq_u32_e64 s[0:1], 3, v13
	v_lshrrev_b32_e32 v6, 2, v6
	v_and_b32_e32 v14, 7, v11
	s_or_b64 vcc, s[0:1], vcc
	v_cmp_lt_i32_e64 s[2:3], 5, v14
	v_cmp_eq_u32_e64 s[4:5], 3, v14
	v_addc_co_u32_e32 v6, vcc, 0, v6, vcc
	v_lshrrev_b32_e32 v11, 2, v11
	s_or_b64 vcc, s[4:5], s[2:3]
	v_addc_co_u32_e32 v11, vcc, 0, v11, vcc
	v_cmp_gt_i32_e32 vcc, 31, v10
	v_cndmask_b32_e32 v6, v0, v6, vcc
	v_cmp_gt_i32_e32 vcc, 31, v12
	v_lshl_or_b32 v4, v4, 9, v0
	v_cndmask_b32_e32 v11, v0, v11, vcc
	v_cmp_eq_u32_e32 vcc, s18, v10
	v_lshrrev_b32_e32 v7, 16, v7
	v_lshl_or_b32 v8, v8, 9, v0
	v_cndmask_b32_e32 v4, v6, v4, vcc
	v_cmp_eq_u32_e32 vcc, s18, v12
	v_lshrrev_b32_e32 v9, 16, v9
	v_cndmask_b32_e32 v6, v11, v8, vcc
	v_and_or_b32 v4, v7, s17, v4
	v_and_or_b32 v6, v9, s17, v6
	v_and_b32_e32 v4, 0xffff, v4
	v_lshl_or_b32 v4, v6, 16, v4
	global_store_dword v[2:3], v4, off
	global_load_dword v4, v41, s[6:7] offset:1560
	v_lshrrev_b32_e32 v6, 16, v5
	v_mov_b32_e32 v8, s9
	v_add_co_u32_e32 v2, vcc, s8, v2
	v_addc_co_u32_e32 v3, vcc, v3, v8, vcc
	s_waitcnt vmcnt(0)
	v_mul_f16_sdwa v7, v6, v4 dst_sel:DWORD dst_unused:UNUSED_PAD src0_sel:DWORD src1_sel:WORD_1
	v_fma_f16 v7, v5, v4, v7
	v_mul_f16_sdwa v5, v5, v4 dst_sel:DWORD dst_unused:UNUSED_PAD src0_sel:DWORD src1_sel:WORD_1
	v_cvt_f32_f16_e32 v7, v7
	v_fma_f16 v4, v4, v6, -v5
	v_cvt_f32_f16_e32 v6, v4
	v_cvt_f64_f32_e32 v[4:5], v7
	v_cvt_f64_f32_e32 v[6:7], v6
	v_mul_f64 v[4:5], v[4:5], s[14:15]
	v_mul_f64 v[6:7], v[6:7], s[14:15]
	v_and_or_b32 v4, v5, s16, v4
	v_cmp_ne_u32_e32 vcc, 0, v4
	v_and_or_b32 v6, v7, s16, v6
	v_lshrrev_b32_e32 v8, 8, v5
	v_bfe_u32 v9, v5, 20, 11
	v_cndmask_b32_e64 v4, 0, 1, vcc
	v_cmp_ne_u32_e32 vcc, 0, v6
	v_lshrrev_b32_e32 v10, 8, v7
	v_bfe_u32 v11, v7, 20, 11
	v_sub_u32_e32 v12, 0x3f1, v9
	v_cndmask_b32_e64 v6, 0, 1, vcc
	v_and_or_b32 v4, v8, s10, v4
	v_sub_u32_e32 v13, 0x3f1, v11
	v_med3_i32 v8, v12, 0, 13
	v_and_or_b32 v6, v10, s10, v6
	v_or_b32_e32 v12, 0x1000, v4
	v_add_u32_e32 v9, 0xfffffc10, v9
	v_med3_i32 v10, v13, 0, 13
	v_cmp_ne_u32_e32 vcc, 0, v4
	v_or_b32_e32 v14, 0x1000, v6
	v_lshrrev_b32_e32 v16, v8, v12
	v_add_u32_e32 v11, 0xfffffc10, v11
	v_lshl_or_b32 v13, v9, 12, v4
	v_cndmask_b32_e64 v4, 0, 1, vcc
	v_cmp_ne_u32_e32 vcc, 0, v6
	v_lshrrev_b32_e32 v17, v10, v14
	v_lshlrev_b32_e32 v8, v8, v16
	v_lshl_or_b32 v15, v11, 12, v6
	v_cndmask_b32_e64 v6, 0, 1, vcc
	v_lshlrev_b32_e32 v10, v10, v17
	v_cmp_ne_u32_e32 vcc, v8, v12
	v_cndmask_b32_e64 v8, 0, 1, vcc
	v_cmp_ne_u32_e32 vcc, v10, v14
	v_cndmask_b32_e64 v10, 0, 1, vcc
	v_or_b32_e32 v8, v16, v8
	v_cmp_gt_i32_e32 vcc, 1, v9
	v_cndmask_b32_e32 v8, v13, v8, vcc
	v_or_b32_e32 v10, v17, v10
	v_cmp_gt_i32_e32 vcc, 1, v11
	v_and_b32_e32 v12, 7, v8
	v_cndmask_b32_e32 v10, v15, v10, vcc
	v_cmp_lt_i32_e32 vcc, 5, v12
	v_cmp_eq_u32_e64 s[0:1], 3, v12
	v_lshrrev_b32_e32 v8, 2, v8
	v_and_b32_e32 v13, 7, v10
	s_or_b64 vcc, s[0:1], vcc
	v_cmp_lt_i32_e64 s[2:3], 5, v13
	v_cmp_eq_u32_e64 s[4:5], 3, v13
	v_addc_co_u32_e32 v8, vcc, 0, v8, vcc
	v_lshrrev_b32_e32 v10, 2, v10
	s_or_b64 vcc, s[4:5], s[2:3]
	v_addc_co_u32_e32 v10, vcc, 0, v10, vcc
	v_cmp_gt_i32_e32 vcc, 31, v9
	v_cndmask_b32_e32 v8, v0, v8, vcc
	v_cmp_gt_i32_e32 vcc, 31, v11
	v_lshl_or_b32 v4, v4, 9, v0
	v_cndmask_b32_e32 v10, v0, v10, vcc
	v_cmp_eq_u32_e32 vcc, s18, v9
	v_lshrrev_b32_e32 v5, 16, v5
	v_lshl_or_b32 v6, v6, 9, v0
	v_cndmask_b32_e32 v4, v8, v4, vcc
	v_cmp_eq_u32_e32 vcc, s18, v11
	v_lshrrev_b32_e32 v7, 16, v7
	v_cndmask_b32_e32 v6, v10, v6, vcc
	v_and_or_b32 v4, v5, s17, v4
	v_and_or_b32 v5, v7, s17, v6
	v_and_b32_e32 v4, 0xffff, v4
	v_lshl_or_b32 v4, v5, 16, v4
	global_store_dword v[2:3], v4, off
	global_load_dword v6, v41, s[6:7] offset:1716
	ds_read2_b32 v[4:5], v1 offset0:173 offset1:212
	s_waitcnt lgkmcnt(0)
	v_lshrrev_b32_e32 v1, 16, v4
	s_waitcnt vmcnt(0)
	v_mul_f16_sdwa v7, v1, v6 dst_sel:DWORD dst_unused:UNUSED_PAD src0_sel:DWORD src1_sel:WORD_1
	v_fma_f16 v7, v4, v6, v7
	v_mul_f16_sdwa v4, v4, v6 dst_sel:DWORD dst_unused:UNUSED_PAD src0_sel:DWORD src1_sel:WORD_1
	v_cvt_f32_f16_e32 v7, v7
	v_fma_f16 v1, v6, v1, -v4
	v_cvt_f32_f16_e32 v1, v1
	v_mov_b32_e32 v4, s9
	v_cvt_f64_f32_e32 v[6:7], v7
	v_cvt_f64_f32_e32 v[8:9], v1
	v_add_co_u32_e32 v1, vcc, s8, v2
	v_mul_f64 v[6:7], v[6:7], s[14:15]
	v_mul_f64 v[8:9], v[8:9], s[14:15]
	v_addc_co_u32_e32 v2, vcc, v3, v4, vcc
	v_and_or_b32 v3, v7, s16, v6
	v_and_or_b32 v8, v9, s16, v8
	v_cmp_ne_u32_e32 vcc, 0, v3
	v_lshrrev_b32_e32 v4, 8, v7
	v_bfe_u32 v6, v7, 20, 11
	v_cndmask_b32_e64 v3, 0, 1, vcc
	v_cmp_ne_u32_e32 vcc, 0, v8
	v_lshrrev_b32_e32 v10, 8, v9
	v_bfe_u32 v11, v9, 20, 11
	v_sub_u32_e32 v12, 0x3f1, v6
	v_cndmask_b32_e64 v8, 0, 1, vcc
	v_and_or_b32 v3, v4, s10, v3
	v_sub_u32_e32 v13, 0x3f1, v11
	v_med3_i32 v4, v12, 0, 13
	v_and_or_b32 v8, v10, s10, v8
	v_or_b32_e32 v12, 0x1000, v3
	v_add_u32_e32 v6, 0xfffffc10, v6
	v_med3_i32 v10, v13, 0, 13
	v_cmp_ne_u32_e32 vcc, 0, v3
	v_or_b32_e32 v14, 0x1000, v8
	v_lshrrev_b32_e32 v16, v4, v12
	v_add_u32_e32 v11, 0xfffffc10, v11
	v_lshl_or_b32 v13, v6, 12, v3
	v_cndmask_b32_e64 v3, 0, 1, vcc
	v_cmp_ne_u32_e32 vcc, 0, v8
	v_lshrrev_b32_e32 v17, v10, v14
	v_lshlrev_b32_e32 v4, v4, v16
	v_lshl_or_b32 v15, v11, 12, v8
	v_cndmask_b32_e64 v8, 0, 1, vcc
	v_lshlrev_b32_e32 v10, v10, v17
	v_cmp_ne_u32_e32 vcc, v4, v12
	v_cndmask_b32_e64 v4, 0, 1, vcc
	v_cmp_ne_u32_e32 vcc, v10, v14
	v_cndmask_b32_e64 v10, 0, 1, vcc
	v_or_b32_e32 v4, v16, v4
	v_cmp_gt_i32_e32 vcc, 1, v6
	v_cndmask_b32_e32 v4, v13, v4, vcc
	v_or_b32_e32 v10, v17, v10
	v_cmp_gt_i32_e32 vcc, 1, v11
	v_and_b32_e32 v12, 7, v4
	v_cndmask_b32_e32 v10, v15, v10, vcc
	v_cmp_lt_i32_e32 vcc, 5, v12
	v_cmp_eq_u32_e64 s[0:1], 3, v12
	v_lshrrev_b32_e32 v4, 2, v4
	v_and_b32_e32 v13, 7, v10
	s_or_b64 vcc, s[0:1], vcc
	v_cmp_lt_i32_e64 s[2:3], 5, v13
	v_cmp_eq_u32_e64 s[4:5], 3, v13
	v_addc_co_u32_e32 v4, vcc, 0, v4, vcc
	v_lshrrev_b32_e32 v10, 2, v10
	s_or_b64 vcc, s[4:5], s[2:3]
	v_addc_co_u32_e32 v10, vcc, 0, v10, vcc
	v_cmp_gt_i32_e32 vcc, 31, v6
	v_cndmask_b32_e32 v4, v0, v4, vcc
	v_cmp_gt_i32_e32 vcc, 31, v11
	v_lshl_or_b32 v3, v3, 9, v0
	v_cndmask_b32_e32 v10, v0, v10, vcc
	v_cmp_eq_u32_e32 vcc, s18, v6
	v_lshrrev_b32_e32 v7, 16, v7
	v_lshl_or_b32 v8, v8, 9, v0
	v_cndmask_b32_e32 v3, v4, v3, vcc
	v_cmp_eq_u32_e32 vcc, s18, v11
	v_lshrrev_b32_e32 v9, 16, v9
	v_cndmask_b32_e32 v4, v10, v8, vcc
	v_and_or_b32 v3, v7, s17, v3
	v_and_or_b32 v4, v9, s17, v4
	v_and_b32_e32 v3, 0xffff, v3
	v_lshl_or_b32 v3, v4, 16, v3
	global_store_dword v[1:2], v3, off
	global_load_dword v3, v41, s[6:7] offset:1872
	v_lshrrev_b32_e32 v4, 16, v5
	v_mov_b32_e32 v7, s9
	v_add_co_u32_e32 v1, vcc, s8, v1
	v_addc_co_u32_e32 v2, vcc, v2, v7, vcc
	s_waitcnt vmcnt(0)
	v_mul_f16_sdwa v6, v4, v3 dst_sel:DWORD dst_unused:UNUSED_PAD src0_sel:DWORD src1_sel:WORD_1
	v_fma_f16 v6, v5, v3, v6
	v_mul_f16_sdwa v5, v5, v3 dst_sel:DWORD dst_unused:UNUSED_PAD src0_sel:DWORD src1_sel:WORD_1
	v_cvt_f32_f16_e32 v6, v6
	v_fma_f16 v3, v3, v4, -v5
	v_cvt_f32_f16_e32 v5, v3
	v_cvt_f64_f32_e32 v[3:4], v6
	v_cvt_f64_f32_e32 v[5:6], v5
	v_mul_f64 v[3:4], v[3:4], s[14:15]
	v_mul_f64 v[5:6], v[5:6], s[14:15]
	v_and_or_b32 v3, v4, s16, v3
	v_cmp_ne_u32_e32 vcc, 0, v3
	v_and_or_b32 v5, v6, s16, v5
	v_lshrrev_b32_e32 v7, 8, v4
	v_bfe_u32 v8, v4, 20, 11
	v_cndmask_b32_e64 v3, 0, 1, vcc
	v_cmp_ne_u32_e32 vcc, 0, v5
	v_lshrrev_b32_e32 v9, 8, v6
	v_bfe_u32 v10, v6, 20, 11
	v_sub_u32_e32 v11, 0x3f1, v8
	v_cndmask_b32_e64 v5, 0, 1, vcc
	v_and_or_b32 v3, v7, s10, v3
	v_sub_u32_e32 v12, 0x3f1, v10
	v_med3_i32 v7, v11, 0, 13
	v_and_or_b32 v5, v9, s10, v5
	v_or_b32_e32 v11, 0x1000, v3
	v_add_u32_e32 v8, 0xfffffc10, v8
	v_med3_i32 v9, v12, 0, 13
	v_cmp_ne_u32_e32 vcc, 0, v3
	v_or_b32_e32 v13, 0x1000, v5
	v_lshrrev_b32_e32 v15, v7, v11
	v_add_u32_e32 v10, 0xfffffc10, v10
	v_lshl_or_b32 v12, v8, 12, v3
	v_cndmask_b32_e64 v3, 0, 1, vcc
	v_cmp_ne_u32_e32 vcc, 0, v5
	v_lshrrev_b32_e32 v16, v9, v13
	v_lshlrev_b32_e32 v7, v7, v15
	v_lshl_or_b32 v14, v10, 12, v5
	v_cndmask_b32_e64 v5, 0, 1, vcc
	v_lshlrev_b32_e32 v9, v9, v16
	v_cmp_ne_u32_e32 vcc, v7, v11
	v_cndmask_b32_e64 v7, 0, 1, vcc
	v_cmp_ne_u32_e32 vcc, v9, v13
	v_cndmask_b32_e64 v9, 0, 1, vcc
	v_or_b32_e32 v7, v15, v7
	v_cmp_gt_i32_e32 vcc, 1, v8
	v_cndmask_b32_e32 v7, v12, v7, vcc
	v_or_b32_e32 v9, v16, v9
	v_cmp_gt_i32_e32 vcc, 1, v10
	v_and_b32_e32 v11, 7, v7
	v_cndmask_b32_e32 v9, v14, v9, vcc
	v_cmp_lt_i32_e32 vcc, 5, v11
	v_cmp_eq_u32_e64 s[0:1], 3, v11
	v_lshrrev_b32_e32 v7, 2, v7
	v_and_b32_e32 v12, 7, v9
	s_or_b64 vcc, s[0:1], vcc
	v_cmp_lt_i32_e64 s[2:3], 5, v12
	v_cmp_eq_u32_e64 s[4:5], 3, v12
	v_addc_co_u32_e32 v7, vcc, 0, v7, vcc
	v_lshrrev_b32_e32 v9, 2, v9
	s_or_b64 vcc, s[4:5], s[2:3]
	v_addc_co_u32_e32 v9, vcc, 0, v9, vcc
	v_cmp_gt_i32_e32 vcc, 31, v8
	v_cndmask_b32_e32 v7, v0, v7, vcc
	v_cmp_gt_i32_e32 vcc, 31, v10
	v_lshl_or_b32 v3, v3, 9, v0
	v_cndmask_b32_e32 v9, v0, v9, vcc
	v_cmp_eq_u32_e32 vcc, s18, v8
	v_lshrrev_b32_e32 v4, 16, v4
	v_lshl_or_b32 v5, v5, 9, v0
	v_cndmask_b32_e32 v3, v7, v3, vcc
	v_cmp_eq_u32_e32 vcc, s18, v10
	v_lshrrev_b32_e32 v6, 16, v6
	v_cndmask_b32_e32 v5, v9, v5, vcc
	v_and_or_b32 v3, v4, s17, v3
	v_and_or_b32 v4, v6, s17, v5
	v_and_b32_e32 v3, 0xffff, v3
	v_lshl_or_b32 v3, v4, 16, v3
	global_store_dword v[1:2], v3, off
	global_load_dword v5, v41, s[6:7] offset:2028
	v_add_u32_e32 v3, 0x600, v41
	ds_read2_b32 v[3:4], v3 offset0:123 offset1:162
	v_add_co_u32_e32 v1, vcc, s8, v1
	s_waitcnt lgkmcnt(0)
	v_lshrrev_b32_e32 v6, 16, v3
	s_waitcnt vmcnt(0)
	v_mul_f16_sdwa v7, v6, v5 dst_sel:DWORD dst_unused:UNUSED_PAD src0_sel:DWORD src1_sel:WORD_1
	v_fma_f16 v7, v3, v5, v7
	v_mul_f16_sdwa v3, v3, v5 dst_sel:DWORD dst_unused:UNUSED_PAD src0_sel:DWORD src1_sel:WORD_1
	v_cvt_f32_f16_e32 v7, v7
	v_fma_f16 v3, v5, v6, -v3
	v_cvt_f32_f16_e32 v3, v3
	v_cvt_f64_f32_e32 v[5:6], v7
	v_cvt_f64_f32_e32 v[7:8], v3
	v_mov_b32_e32 v3, s9
	v_mul_f64 v[5:6], v[5:6], s[14:15]
	v_addc_co_u32_e32 v2, vcc, v2, v3, vcc
	v_mul_f64 v[7:8], v[7:8], s[14:15]
	v_and_or_b32 v3, v6, s16, v5
	v_cmp_ne_u32_e32 vcc, 0, v3
	v_lshrrev_b32_e32 v5, 8, v6
	v_and_or_b32 v7, v8, s16, v7
	v_bfe_u32 v9, v6, 20, 11
	v_cndmask_b32_e64 v3, 0, 1, vcc
	v_cmp_ne_u32_e32 vcc, 0, v7
	v_lshrrev_b32_e32 v10, 8, v8
	v_bfe_u32 v11, v8, 20, 11
	v_sub_u32_e32 v12, 0x3f1, v9
	v_cndmask_b32_e64 v7, 0, 1, vcc
	v_and_or_b32 v3, v5, s10, v3
	v_sub_u32_e32 v13, 0x3f1, v11
	v_med3_i32 v5, v12, 0, 13
	v_and_or_b32 v7, v10, s10, v7
	v_or_b32_e32 v12, 0x1000, v3
	v_add_u32_e32 v9, 0xfffffc10, v9
	v_med3_i32 v10, v13, 0, 13
	v_cmp_ne_u32_e32 vcc, 0, v3
	v_or_b32_e32 v14, 0x1000, v7
	v_lshrrev_b32_e32 v16, v5, v12
	v_add_u32_e32 v11, 0xfffffc10, v11
	v_lshl_or_b32 v13, v9, 12, v3
	v_cndmask_b32_e64 v3, 0, 1, vcc
	v_cmp_ne_u32_e32 vcc, 0, v7
	v_lshrrev_b32_e32 v17, v10, v14
	v_lshlrev_b32_e32 v5, v5, v16
	v_lshl_or_b32 v15, v11, 12, v7
	v_cndmask_b32_e64 v7, 0, 1, vcc
	v_lshlrev_b32_e32 v10, v10, v17
	v_cmp_ne_u32_e32 vcc, v5, v12
	v_cndmask_b32_e64 v5, 0, 1, vcc
	v_cmp_ne_u32_e32 vcc, v10, v14
	v_cndmask_b32_e64 v10, 0, 1, vcc
	v_or_b32_e32 v5, v16, v5
	v_cmp_gt_i32_e32 vcc, 1, v9
	v_cndmask_b32_e32 v5, v13, v5, vcc
	v_or_b32_e32 v10, v17, v10
	v_cmp_gt_i32_e32 vcc, 1, v11
	v_and_b32_e32 v12, 7, v5
	v_cndmask_b32_e32 v10, v15, v10, vcc
	v_cmp_lt_i32_e32 vcc, 5, v12
	v_cmp_eq_u32_e64 s[0:1], 3, v12
	v_lshrrev_b32_e32 v5, 2, v5
	v_and_b32_e32 v13, 7, v10
	s_or_b64 vcc, s[0:1], vcc
	v_cmp_lt_i32_e64 s[2:3], 5, v13
	v_cmp_eq_u32_e64 s[4:5], 3, v13
	v_addc_co_u32_e32 v5, vcc, 0, v5, vcc
	v_lshrrev_b32_e32 v10, 2, v10
	s_or_b64 vcc, s[4:5], s[2:3]
	v_addc_co_u32_e32 v10, vcc, 0, v10, vcc
	v_cmp_gt_i32_e32 vcc, 31, v9
	v_cndmask_b32_e32 v5, v0, v5, vcc
	v_cmp_gt_i32_e32 vcc, 31, v11
	v_lshl_or_b32 v3, v3, 9, v0
	v_cndmask_b32_e32 v10, v0, v10, vcc
	v_cmp_eq_u32_e32 vcc, s18, v9
	v_lshrrev_b32_e32 v6, 16, v6
	v_lshl_or_b32 v7, v7, 9, v0
	v_cndmask_b32_e32 v3, v5, v3, vcc
	v_cmp_eq_u32_e32 vcc, s18, v11
	v_lshrrev_b32_e32 v8, 16, v8
	v_cndmask_b32_e32 v5, v10, v7, vcc
	v_and_or_b32 v3, v6, s17, v3
	v_and_or_b32 v5, v8, s17, v5
	v_and_b32_e32 v3, 0xffff, v3
	v_lshl_or_b32 v3, v5, 16, v3
	global_store_dword v[1:2], v3, off
	global_load_dword v3, v41, s[6:7] offset:2184
	v_lshrrev_b32_e32 v5, 16, v4
	v_mov_b32_e32 v7, s9
	v_add_co_u32_e32 v1, vcc, s8, v1
	v_addc_co_u32_e32 v2, vcc, v2, v7, vcc
	s_waitcnt vmcnt(0)
	v_mul_f16_sdwa v6, v5, v3 dst_sel:DWORD dst_unused:UNUSED_PAD src0_sel:DWORD src1_sel:WORD_1
	v_fma_f16 v6, v4, v3, v6
	v_mul_f16_sdwa v4, v4, v3 dst_sel:DWORD dst_unused:UNUSED_PAD src0_sel:DWORD src1_sel:WORD_1
	v_cvt_f32_f16_e32 v6, v6
	v_fma_f16 v3, v3, v5, -v4
	v_cvt_f32_f16_e32 v5, v3
	v_cvt_f64_f32_e32 v[3:4], v6
	v_cvt_f64_f32_e32 v[5:6], v5
	v_mul_f64 v[3:4], v[3:4], s[14:15]
	v_mul_f64 v[5:6], v[5:6], s[14:15]
	v_and_or_b32 v3, v4, s16, v3
	v_cmp_ne_u32_e32 vcc, 0, v3
	v_and_or_b32 v5, v6, s16, v5
	v_lshrrev_b32_e32 v7, 8, v4
	v_bfe_u32 v8, v4, 20, 11
	v_cndmask_b32_e64 v3, 0, 1, vcc
	v_cmp_ne_u32_e32 vcc, 0, v5
	v_lshrrev_b32_e32 v9, 8, v6
	v_bfe_u32 v10, v6, 20, 11
	v_sub_u32_e32 v11, 0x3f1, v8
	v_cndmask_b32_e64 v5, 0, 1, vcc
	v_and_or_b32 v3, v7, s10, v3
	v_sub_u32_e32 v12, 0x3f1, v10
	v_med3_i32 v7, v11, 0, 13
	v_and_or_b32 v5, v9, s10, v5
	v_or_b32_e32 v11, 0x1000, v3
	v_add_u32_e32 v8, 0xfffffc10, v8
	v_med3_i32 v9, v12, 0, 13
	v_cmp_ne_u32_e32 vcc, 0, v3
	v_or_b32_e32 v13, 0x1000, v5
	v_lshrrev_b32_e32 v15, v7, v11
	v_add_u32_e32 v10, 0xfffffc10, v10
	v_lshl_or_b32 v12, v8, 12, v3
	v_cndmask_b32_e64 v3, 0, 1, vcc
	v_cmp_ne_u32_e32 vcc, 0, v5
	v_lshrrev_b32_e32 v16, v9, v13
	v_lshlrev_b32_e32 v7, v7, v15
	v_lshl_or_b32 v14, v10, 12, v5
	v_cndmask_b32_e64 v5, 0, 1, vcc
	v_lshlrev_b32_e32 v9, v9, v16
	v_cmp_ne_u32_e32 vcc, v7, v11
	v_cndmask_b32_e64 v7, 0, 1, vcc
	v_cmp_ne_u32_e32 vcc, v9, v13
	v_cndmask_b32_e64 v9, 0, 1, vcc
	v_or_b32_e32 v7, v15, v7
	v_cmp_gt_i32_e32 vcc, 1, v8
	v_cndmask_b32_e32 v7, v12, v7, vcc
	v_or_b32_e32 v9, v16, v9
	v_cmp_gt_i32_e32 vcc, 1, v10
	v_and_b32_e32 v11, 7, v7
	v_cndmask_b32_e32 v9, v14, v9, vcc
	v_cmp_lt_i32_e32 vcc, 5, v11
	v_cmp_eq_u32_e64 s[0:1], 3, v11
	v_lshrrev_b32_e32 v7, 2, v7
	v_and_b32_e32 v12, 7, v9
	s_or_b64 vcc, s[0:1], vcc
	v_cmp_lt_i32_e64 s[2:3], 5, v12
	v_cmp_eq_u32_e64 s[4:5], 3, v12
	v_addc_co_u32_e32 v7, vcc, 0, v7, vcc
	v_lshrrev_b32_e32 v9, 2, v9
	s_or_b64 vcc, s[4:5], s[2:3]
	v_addc_co_u32_e32 v9, vcc, 0, v9, vcc
	v_cmp_gt_i32_e32 vcc, 31, v8
	v_cndmask_b32_e32 v7, v0, v7, vcc
	v_cmp_gt_i32_e32 vcc, 31, v10
	v_lshl_or_b32 v3, v3, 9, v0
	v_cndmask_b32_e32 v9, v0, v9, vcc
	v_cmp_eq_u32_e32 vcc, s18, v8
	v_lshrrev_b32_e32 v4, 16, v4
	v_lshl_or_b32 v5, v5, 9, v0
	v_cndmask_b32_e32 v3, v7, v3, vcc
	v_cmp_eq_u32_e32 vcc, s18, v10
	v_lshrrev_b32_e32 v6, 16, v6
	v_cndmask_b32_e32 v5, v9, v5, vcc
	v_and_or_b32 v3, v4, s17, v3
	v_and_or_b32 v4, v6, s17, v5
	v_and_b32_e32 v3, 0xffff, v3
	v_lshl_or_b32 v3, v4, 16, v3
	global_store_dword v[1:2], v3, off
	global_load_dword v5, v41, s[6:7] offset:2340
	v_add_u32_e32 v3, 0x800, v41
	ds_read2_b32 v[3:4], v3 offset0:73 offset1:112
	v_add_co_u32_e32 v1, vcc, s8, v1
	s_waitcnt lgkmcnt(0)
	v_lshrrev_b32_e32 v6, 16, v3
	s_waitcnt vmcnt(0)
	v_mul_f16_sdwa v7, v6, v5 dst_sel:DWORD dst_unused:UNUSED_PAD src0_sel:DWORD src1_sel:WORD_1
	v_fma_f16 v7, v3, v5, v7
	v_mul_f16_sdwa v3, v3, v5 dst_sel:DWORD dst_unused:UNUSED_PAD src0_sel:DWORD src1_sel:WORD_1
	v_cvt_f32_f16_e32 v7, v7
	v_fma_f16 v3, v5, v6, -v3
	v_cvt_f32_f16_e32 v3, v3
	v_cvt_f64_f32_e32 v[5:6], v7
	v_cvt_f64_f32_e32 v[7:8], v3
	v_mov_b32_e32 v3, s9
	v_mul_f64 v[5:6], v[5:6], s[14:15]
	v_addc_co_u32_e32 v2, vcc, v2, v3, vcc
	v_mul_f64 v[7:8], v[7:8], s[14:15]
	v_and_or_b32 v3, v6, s16, v5
	v_cmp_ne_u32_e32 vcc, 0, v3
	v_lshrrev_b32_e32 v5, 8, v6
	v_and_or_b32 v7, v8, s16, v7
	v_bfe_u32 v9, v6, 20, 11
	v_cndmask_b32_e64 v3, 0, 1, vcc
	v_cmp_ne_u32_e32 vcc, 0, v7
	v_lshrrev_b32_e32 v10, 8, v8
	v_bfe_u32 v11, v8, 20, 11
	v_sub_u32_e32 v12, 0x3f1, v9
	v_cndmask_b32_e64 v7, 0, 1, vcc
	v_and_or_b32 v3, v5, s10, v3
	v_sub_u32_e32 v13, 0x3f1, v11
	v_med3_i32 v5, v12, 0, 13
	v_and_or_b32 v7, v10, s10, v7
	v_or_b32_e32 v12, 0x1000, v3
	v_add_u32_e32 v9, 0xfffffc10, v9
	v_med3_i32 v10, v13, 0, 13
	v_cmp_ne_u32_e32 vcc, 0, v3
	v_or_b32_e32 v14, 0x1000, v7
	v_lshrrev_b32_e32 v16, v5, v12
	v_add_u32_e32 v11, 0xfffffc10, v11
	v_lshl_or_b32 v13, v9, 12, v3
	v_cndmask_b32_e64 v3, 0, 1, vcc
	v_cmp_ne_u32_e32 vcc, 0, v7
	v_lshrrev_b32_e32 v17, v10, v14
	v_lshlrev_b32_e32 v5, v5, v16
	v_lshl_or_b32 v15, v11, 12, v7
	v_cndmask_b32_e64 v7, 0, 1, vcc
	v_lshlrev_b32_e32 v10, v10, v17
	v_cmp_ne_u32_e32 vcc, v5, v12
	v_cndmask_b32_e64 v5, 0, 1, vcc
	v_cmp_ne_u32_e32 vcc, v10, v14
	v_cndmask_b32_e64 v10, 0, 1, vcc
	v_or_b32_e32 v5, v16, v5
	v_cmp_gt_i32_e32 vcc, 1, v9
	v_cndmask_b32_e32 v5, v13, v5, vcc
	v_or_b32_e32 v10, v17, v10
	v_cmp_gt_i32_e32 vcc, 1, v11
	v_and_b32_e32 v12, 7, v5
	v_cndmask_b32_e32 v10, v15, v10, vcc
	v_cmp_lt_i32_e32 vcc, 5, v12
	v_cmp_eq_u32_e64 s[0:1], 3, v12
	v_lshrrev_b32_e32 v5, 2, v5
	v_and_b32_e32 v13, 7, v10
	s_or_b64 vcc, s[0:1], vcc
	v_cmp_lt_i32_e64 s[2:3], 5, v13
	v_cmp_eq_u32_e64 s[4:5], 3, v13
	v_addc_co_u32_e32 v5, vcc, 0, v5, vcc
	v_lshrrev_b32_e32 v10, 2, v10
	s_or_b64 vcc, s[4:5], s[2:3]
	v_addc_co_u32_e32 v10, vcc, 0, v10, vcc
	v_cmp_gt_i32_e32 vcc, 31, v9
	v_cndmask_b32_e32 v5, v0, v5, vcc
	v_cmp_gt_i32_e32 vcc, 31, v11
	v_lshl_or_b32 v3, v3, 9, v0
	v_cndmask_b32_e32 v10, v0, v10, vcc
	v_cmp_eq_u32_e32 vcc, s18, v9
	v_lshrrev_b32_e32 v6, 16, v6
	v_lshl_or_b32 v7, v7, 9, v0
	v_cndmask_b32_e32 v3, v5, v3, vcc
	v_cmp_eq_u32_e32 vcc, s18, v11
	v_lshrrev_b32_e32 v8, 16, v8
	v_cndmask_b32_e32 v5, v10, v7, vcc
	v_and_or_b32 v3, v6, s17, v3
	v_and_or_b32 v5, v8, s17, v5
	v_and_b32_e32 v3, 0xffff, v3
	v_lshl_or_b32 v3, v5, 16, v3
	global_store_dword v[1:2], v3, off
	global_load_dword v3, v41, s[6:7] offset:2496
	v_lshrrev_b32_e32 v5, 16, v4
	v_mov_b32_e32 v7, s9
	s_waitcnt vmcnt(0)
	v_mul_f16_sdwa v6, v5, v3 dst_sel:DWORD dst_unused:UNUSED_PAD src0_sel:DWORD src1_sel:WORD_1
	v_fma_f16 v6, v4, v3, v6
	v_mul_f16_sdwa v4, v4, v3 dst_sel:DWORD dst_unused:UNUSED_PAD src0_sel:DWORD src1_sel:WORD_1
	v_cvt_f32_f16_e32 v6, v6
	v_fma_f16 v3, v3, v5, -v4
	v_cvt_f32_f16_e32 v5, v3
	v_cvt_f64_f32_e32 v[3:4], v6
	v_cvt_f64_f32_e32 v[5:6], v5
	v_mul_f64 v[3:4], v[3:4], s[14:15]
	v_mul_f64 v[5:6], v[5:6], s[14:15]
	v_and_or_b32 v3, v4, s16, v3
	v_cmp_ne_u32_e32 vcc, 0, v3
	v_and_or_b32 v5, v6, s16, v5
	v_lshrrev_b32_e32 v8, 8, v4
	v_bfe_u32 v9, v4, 20, 11
	v_cndmask_b32_e64 v3, 0, 1, vcc
	v_cmp_ne_u32_e32 vcc, 0, v5
	v_lshrrev_b32_e32 v10, 8, v6
	v_bfe_u32 v11, v6, 20, 11
	v_sub_u32_e32 v12, 0x3f1, v9
	v_cndmask_b32_e64 v5, 0, 1, vcc
	v_and_or_b32 v3, v8, s10, v3
	v_sub_u32_e32 v13, 0x3f1, v11
	v_med3_i32 v8, v12, 0, 13
	v_and_or_b32 v5, v10, s10, v5
	v_or_b32_e32 v12, 0x1000, v3
	v_add_u32_e32 v9, 0xfffffc10, v9
	v_med3_i32 v10, v13, 0, 13
	v_cmp_ne_u32_e32 vcc, 0, v3
	v_or_b32_e32 v14, 0x1000, v5
	v_lshrrev_b32_e32 v16, v8, v12
	v_add_u32_e32 v11, 0xfffffc10, v11
	v_lshl_or_b32 v13, v9, 12, v3
	v_cndmask_b32_e64 v3, 0, 1, vcc
	v_cmp_ne_u32_e32 vcc, 0, v5
	v_lshrrev_b32_e32 v17, v10, v14
	v_lshlrev_b32_e32 v8, v8, v16
	v_lshl_or_b32 v15, v11, 12, v5
	v_cndmask_b32_e64 v5, 0, 1, vcc
	v_lshlrev_b32_e32 v10, v10, v17
	v_cmp_ne_u32_e32 vcc, v8, v12
	v_cndmask_b32_e64 v8, 0, 1, vcc
	v_cmp_ne_u32_e32 vcc, v10, v14
	v_cndmask_b32_e64 v10, 0, 1, vcc
	v_or_b32_e32 v8, v16, v8
	v_cmp_gt_i32_e32 vcc, 1, v9
	v_cndmask_b32_e32 v8, v13, v8, vcc
	v_or_b32_e32 v10, v17, v10
	v_cmp_gt_i32_e32 vcc, 1, v11
	v_and_b32_e32 v12, 7, v8
	v_cndmask_b32_e32 v10, v15, v10, vcc
	v_cmp_lt_i32_e32 vcc, 5, v12
	v_cmp_eq_u32_e64 s[0:1], 3, v12
	v_lshrrev_b32_e32 v8, 2, v8
	v_and_b32_e32 v13, 7, v10
	s_or_b64 vcc, s[0:1], vcc
	v_cmp_lt_i32_e64 s[2:3], 5, v13
	v_cmp_eq_u32_e64 s[4:5], 3, v13
	v_addc_co_u32_e32 v8, vcc, 0, v8, vcc
	v_lshrrev_b32_e32 v10, 2, v10
	s_or_b64 vcc, s[4:5], s[2:3]
	v_addc_co_u32_e32 v10, vcc, 0, v10, vcc
	v_cmp_gt_i32_e32 vcc, 31, v9
	v_cndmask_b32_e32 v8, v0, v8, vcc
	v_cmp_gt_i32_e32 vcc, 31, v11
	v_lshl_or_b32 v3, v3, 9, v0
	v_lshl_or_b32 v5, v5, 9, v0
	v_cndmask_b32_e32 v0, v0, v10, vcc
	v_cmp_eq_u32_e32 vcc, s18, v9
	v_lshrrev_b32_e32 v4, 16, v4
	v_cndmask_b32_e32 v3, v8, v3, vcc
	v_cmp_eq_u32_e32 vcc, s18, v11
	v_lshrrev_b32_e32 v6, 16, v6
	v_cndmask_b32_e32 v0, v0, v5, vcc
	v_and_or_b32 v3, v4, s17, v3
	v_and_or_b32 v0, v6, s17, v0
	v_and_b32_e32 v3, 0xffff, v3
	v_lshl_or_b32 v3, v0, 16, v3
	v_add_co_u32_e32 v0, vcc, s8, v1
	v_addc_co_u32_e32 v1, vcc, v2, v7, vcc
	global_store_dword v[0:1], v3, off
.LBB0_23:
	s_endpgm
	.section	.rodata,"a",@progbits
	.p2align	6, 0x0
	.amdhsa_kernel bluestein_single_fwd_len663_dim1_half_op_CI_CI
		.amdhsa_group_segment_fixed_size 2652
		.amdhsa_private_segment_fixed_size 0
		.amdhsa_kernarg_size 104
		.amdhsa_user_sgpr_count 6
		.amdhsa_user_sgpr_private_segment_buffer 1
		.amdhsa_user_sgpr_dispatch_ptr 0
		.amdhsa_user_sgpr_queue_ptr 0
		.amdhsa_user_sgpr_kernarg_segment_ptr 1
		.amdhsa_user_sgpr_dispatch_id 0
		.amdhsa_user_sgpr_flat_scratch_init 0
		.amdhsa_user_sgpr_private_segment_size 0
		.amdhsa_uses_dynamic_stack 0
		.amdhsa_system_sgpr_private_segment_wavefront_offset 0
		.amdhsa_system_sgpr_workgroup_id_x 1
		.amdhsa_system_sgpr_workgroup_id_y 0
		.amdhsa_system_sgpr_workgroup_id_z 0
		.amdhsa_system_sgpr_workgroup_info 0
		.amdhsa_system_vgpr_workitem_id 0
		.amdhsa_next_free_vgpr 234
		.amdhsa_next_free_sgpr 39
		.amdhsa_reserve_vcc 1
		.amdhsa_reserve_flat_scratch 0
		.amdhsa_float_round_mode_32 0
		.amdhsa_float_round_mode_16_64 0
		.amdhsa_float_denorm_mode_32 3
		.amdhsa_float_denorm_mode_16_64 3
		.amdhsa_dx10_clamp 1
		.amdhsa_ieee_mode 1
		.amdhsa_fp16_overflow 0
		.amdhsa_exception_fp_ieee_invalid_op 0
		.amdhsa_exception_fp_denorm_src 0
		.amdhsa_exception_fp_ieee_div_zero 0
		.amdhsa_exception_fp_ieee_overflow 0
		.amdhsa_exception_fp_ieee_underflow 0
		.amdhsa_exception_fp_ieee_inexact 0
		.amdhsa_exception_int_div_zero 0
	.end_amdhsa_kernel
	.text
.Lfunc_end0:
	.size	bluestein_single_fwd_len663_dim1_half_op_CI_CI, .Lfunc_end0-bluestein_single_fwd_len663_dim1_half_op_CI_CI
                                        ; -- End function
	.section	.AMDGPU.csdata,"",@progbits
; Kernel info:
; codeLenInByte = 30824
; NumSgprs: 43
; NumVgprs: 234
; ScratchSize: 0
; MemoryBound: 0
; FloatMode: 240
; IeeeMode: 1
; LDSByteSize: 2652 bytes/workgroup (compile time only)
; SGPRBlocks: 5
; VGPRBlocks: 58
; NumSGPRsForWavesPerEU: 43
; NumVGPRsForWavesPerEU: 234
; Occupancy: 1
; WaveLimiterHint : 1
; COMPUTE_PGM_RSRC2:SCRATCH_EN: 0
; COMPUTE_PGM_RSRC2:USER_SGPR: 6
; COMPUTE_PGM_RSRC2:TRAP_HANDLER: 0
; COMPUTE_PGM_RSRC2:TGID_X_EN: 1
; COMPUTE_PGM_RSRC2:TGID_Y_EN: 0
; COMPUTE_PGM_RSRC2:TGID_Z_EN: 0
; COMPUTE_PGM_RSRC2:TIDIG_COMP_CNT: 0
	.type	__hip_cuid_ef947a73e7cfef4d,@object ; @__hip_cuid_ef947a73e7cfef4d
	.section	.bss,"aw",@nobits
	.globl	__hip_cuid_ef947a73e7cfef4d
__hip_cuid_ef947a73e7cfef4d:
	.byte	0                               ; 0x0
	.size	__hip_cuid_ef947a73e7cfef4d, 1

	.ident	"AMD clang version 19.0.0git (https://github.com/RadeonOpenCompute/llvm-project roc-6.4.0 25133 c7fe45cf4b819c5991fe208aaa96edf142730f1d)"
	.section	".note.GNU-stack","",@progbits
	.addrsig
	.addrsig_sym __hip_cuid_ef947a73e7cfef4d
	.amdgpu_metadata
---
amdhsa.kernels:
  - .args:
      - .actual_access:  read_only
        .address_space:  global
        .offset:         0
        .size:           8
        .value_kind:     global_buffer
      - .actual_access:  read_only
        .address_space:  global
        .offset:         8
        .size:           8
        .value_kind:     global_buffer
      - .actual_access:  read_only
        .address_space:  global
        .offset:         16
        .size:           8
        .value_kind:     global_buffer
      - .actual_access:  read_only
        .address_space:  global
        .offset:         24
        .size:           8
        .value_kind:     global_buffer
      - .actual_access:  read_only
        .address_space:  global
        .offset:         32
        .size:           8
        .value_kind:     global_buffer
      - .offset:         40
        .size:           8
        .value_kind:     by_value
      - .address_space:  global
        .offset:         48
        .size:           8
        .value_kind:     global_buffer
      - .address_space:  global
        .offset:         56
        .size:           8
        .value_kind:     global_buffer
      - .address_space:  global
        .offset:         64
        .size:           8
        .value_kind:     global_buffer
      - .address_space:  global
        .offset:         72
        .size:           8
        .value_kind:     global_buffer
      - .offset:         80
        .size:           4
        .value_kind:     by_value
      - .address_space:  global
        .offset:         88
        .size:           8
        .value_kind:     global_buffer
      - .address_space:  global
        .offset:         96
        .size:           8
        .value_kind:     global_buffer
    .group_segment_fixed_size: 2652
    .kernarg_segment_align: 8
    .kernarg_segment_size: 104
    .language:       OpenCL C
    .language_version:
      - 2
      - 0
    .max_flat_workgroup_size: 51
    .name:           bluestein_single_fwd_len663_dim1_half_op_CI_CI
    .private_segment_fixed_size: 0
    .sgpr_count:     43
    .sgpr_spill_count: 0
    .symbol:         bluestein_single_fwd_len663_dim1_half_op_CI_CI.kd
    .uniform_work_group_size: 1
    .uses_dynamic_stack: false
    .vgpr_count:     234
    .vgpr_spill_count: 0
    .wavefront_size: 64
amdhsa.target:   amdgcn-amd-amdhsa--gfx906
amdhsa.version:
  - 1
  - 2
...

	.end_amdgpu_metadata
